;; amdgpu-corpus repo=ROCm/aiter kind=harvested arch=n/a opt=n/a

/root/src/amdgpu-assembly/repos/ROCm__aiter/hsa/gfx950/fmoe/gelu/fmoe_bf16_pertokenInt8_g1u1_multix_gelu_1tg_ps_32x512.co:	file format elf64-amdgpu

Disassembly of section .text:

0000000000002e00 <_ZN5aiter53fmoe_bf16_pertokenInt8_g1u1_multix_gelu_1tg_ps_32x512E>:
	v_lshrrev_b32_e32 v1, 10, v0                               // 000000002E00: 2002008A
	v_lshrrev_b32_e32 v2, 10, v1                               // 000000002E04: 2004028A
	v_and_b32_e32 v2, 0x3ff, v2                                // 000000002E08: 260404FF 000003FF
	v_and_b32_e32 v1, 0x3ff, v1                                // 000000002E10: 260202FF 000003FF
	v_and_b32_e32 v0, 0x3ff, v0                                // 000000002E18: 260000FF 000003FF
	v_lshrrev_b32_e32 v3, 6, v0                                // 000000002E20: 20060086
	v_and_b32_e32 v0, 63, v0                                   // 000000002E24: 260000BF
	s_mov_b32 s2, s2                                           // 000000002E28: BE820002
	s_mov_b32 s3, s3                                           // 000000002E2C: BE830003
	s_mov_b32 s4, s4                                           // 000000002E30: BE840004
	s_mov_b32 s99, s2                                          // 000000002E34: BEE30002
	v_readfirstlane_b32 s7, v3                                 // 000000002E38: 7E0E0503
	s_and_b32 s1, s1, 0xffff                                   // 000000002E3C: 8601FF01 0000FFFF
	s_mov_b32 s96, 0                                           // 000000002E44: BEE00080
	s_mov_b32 s97, 0                                           // 000000002E48: BEE10080
	s_mov_b32 s100, 0                                          // 000000002E4C: BEE40080
	s_load_dword s96, s[0:1], 0x1a0                            // 000000002E50: C0021800 000001A0
	s_load_dword s97, s[0:1], 0x1b0                            // 000000002E58: C0021840 000001B0
	s_waitcnt lgkmcnt(0)                                       // 000000002E60: BF8CC07F
	s_cmp_eq_u32 s96, 0                                        // 000000002E64: BF068060
	s_cbranch_scc1 label_005C                                  // 000000002E68: BF850041
	v_cvt_f32_u32_e32 v52, s97                                 // 000000002E6C: 7E680C61
	s_sub_i32 s60, 0, s97                                      // 000000002E70: 81BC6180
	v_rcp_iflag_f32_e32 v52, v52                               // 000000002E74: 7E684734
	s_nop 0                                                    // 000000002E78: BF800000
	v_mul_f32_e32 v52, 0x4f7ffffe, v52                         // 000000002E7C: 0A6868FF 4F7FFFFE
	v_cvt_u32_f32_e32 v52, v52                                 // 000000002E84: 7E680F34
	v_mul_lo_u32 v53, s60, v52                                 // 000000002E88: D2850035 0002683C
	v_mul_hi_u32 v53, v52, v53                                 // 000000002E90: D2860035 00026B34
	v_add_u32_e32 v52, v52, v53                                // 000000002E98: 68686B34
	v_mul_hi_u32 v52, s96, v52                                 // 000000002E9C: D2860034 00026860
	v_mul_lo_u32 v53, v52, s97                                 // 000000002EA4: D2850035 0000C334
	v_sub_u32_e32 v55, s96, v53                                // 000000002EAC: 6A6E6A60
	v_add_u32_e32 v54, 1, v52                                  // 000000002EB0: 686C6881
	v_cmp_le_u32_e32 vcc, s97, v55                             // 000000002EB4: 7D966E61
	v_subrev_u32_e32 v53, s97, v55                             // 000000002EB8: 6C6A6E61
	s_nop 0                                                    // 000000002EBC: BF800000
	v_cndmask_b32_e32 v52, v52, v54, vcc                       // 000000002EC0: 00686D34
	v_cndmask_b32_e32 v55, v55, v53, vcc                       // 000000002EC4: 006E6B37
	v_add_u32_e32 v53, 1, v52                                  // 000000002EC8: 686A6881
	v_cmp_le_u32_e32 vcc, s97, v55                             // 000000002ECC: 7D966E61
	s_nop 1                                                    // 000000002ED0: BF800001
	v_cndmask_b32_e32 v55, v52, v53, vcc                       // 000000002ED4: 006E6B34
	s_nop 3                                                    // 000000002ED8: BF800003
	v_readfirstlane_b32 s98, v55                               // 000000002EDC: 7EC40537
	s_nop 3                                                    // 000000002EE0: BF800003

0000000000002ee4 <label_0039>:
	s_mov_b32 s4, 0                                            // 000000002EE4: BE840080
	v_cvt_f32_u32_e32 v52, s97                                 // 000000002EE8: 7E680C61
	s_sub_i32 s60, 0, s97                                      // 000000002EEC: 81BC6180
	v_rcp_iflag_f32_e32 v52, v52                               // 000000002EF0: 7E684734
	s_nop 0                                                    // 000000002EF4: BF800000
	v_mul_f32_e32 v52, 0x4f7ffffe, v52                         // 000000002EF8: 0A6868FF 4F7FFFFE
	v_cvt_u32_f32_e32 v52, v52                                 // 000000002F00: 7E680F34
	v_mul_lo_u32 v53, s60, v52                                 // 000000002F04: D2850035 0002683C
	v_mul_hi_u32 v53, v52, v53                                 // 000000002F0C: D2860035 00026B34
	v_add_u32_e32 v52, v52, v53                                // 000000002F14: 68686B34
	v_mul_hi_u32 v52, s99, v52                                 // 000000002F18: D2860034 00026863
	v_mul_lo_u32 v53, v52, s97                                 // 000000002F20: D2850035 0000C334
	v_sub_u32_e32 v55, s99, v53                                // 000000002F28: 6A6E6A63
	v_add_u32_e32 v54, 1, v52                                  // 000000002F2C: 686C6881
	v_cmp_le_u32_e32 vcc, s97, v55                             // 000000002F30: 7D966E61
	v_subrev_u32_e32 v53, s97, v55                             // 000000002F34: 6C6A6E61
	s_nop 0                                                    // 000000002F38: BF800000
	v_cndmask_b32_e32 v52, v52, v54, vcc                       // 000000002F3C: 00686D34
	v_cndmask_b32_e32 v55, v55, v53, vcc                       // 000000002F40: 006E6B37
	v_add_u32_e32 v53, 1, v52                                  // 000000002F44: 686A6881
	v_cmp_le_u32_e32 vcc, s97, v55                             // 000000002F48: 7D966E61
	s_nop 1                                                    // 000000002F4C: BF800001
	v_cndmask_b32_e32 v55, v52, v53, vcc                       // 000000002F50: 006E6B34
	s_nop 3                                                    // 000000002F54: BF800003
	v_readfirstlane_b32 s3, v55                                // 000000002F58: 7E060537
	s_nop 3                                                    // 000000002F5C: BF800003
	s_mul_i32 s60, s3, s97                                     // 000000002F60: 923C6103
	s_sub_u32 s2, s99, s60                                     // 000000002F64: 80823C63
	s_mul_i32 s60, s98, s100                                   // 000000002F68: 923C6462
	s_add_i32 s3, s3, s60                                      // 000000002F6C: 81033C03

0000000000002f70 <label_005C>:
	s_and_b32 s1, s1, 0xffff                                   // 000000002F70: 8601FF01 0000FFFF
	s_load_dwordx2 s[8:9], s[0:1], 0x0                         // 000000002F78: C0060200 00000000
	s_load_dwordx2 s[20:21], s[0:1], 0x10                      // 000000002F80: C0060500 00000010
	s_load_dwordx2 s[24:25], s[0:1], 0x20                      // 000000002F88: C0060600 00000020
	s_load_dwordx2 s[50:51], s[0:1], 0x30                      // 000000002F90: C0060C80 00000030
	s_load_dwordx2 s[12:13], s[0:1], 0x40                      // 000000002F98: C0060300 00000040
	s_load_dwordx2 s[28:29], s[0:1], 0x50                      // 000000002FA0: C0060700 00000050
	s_load_dwordx2 s[32:33], s[0:1], 0x60                      // 000000002FA8: C0060800 00000060
	s_load_dwordx2 s[16:17], s[0:1], 0x70                      // 000000002FB0: C0060400 00000070
	s_load_dwordx2 s[36:37], s[0:1], 0x80                      // 000000002FB8: C0060900 00000080
	s_load_dwordx2 s[44:45], s[0:1], 0x90                      // 000000002FC0: C0060B00 00000090
	s_load_dwordx2 s[40:41], s[0:1], 0xa0                      // 000000002FC8: C0060A00 000000A0
	s_load_dwordx2 s[46:47], s[0:1], 0xb0                      // 000000002FD0: C0060B80 000000B0
	s_load_dword s64, s[0:1], 0xc0                             // 000000002FD8: C0021000 000000C0
	s_load_dword s65, s[0:1], 0xd0                             // 000000002FE0: C0021040 000000D0
	s_load_dword s67, s[0:1], 0xf0                             // 000000002FE8: C00210C0 000000F0
	s_load_dword s68, s[0:1], 0x100                            // 000000002FF0: C0021100 00000100
	s_load_dword s69, s[0:1], 0x110                            // 000000002FF8: C0021140 00000110
	s_load_dword s70, s[0:1], 0x120                            // 000000003000: C0021180 00000120
	s_load_dword s71, s[0:1], 0x130                            // 000000003008: C00211C0 00000130
	s_load_dword s72, s[0:1], 0x140                            // 000000003010: C0021200 00000140
	s_load_dword s73, s[0:1], 0x150                            // 000000003018: C0021240 00000150
	s_load_dword s74, s[0:1], 0x160                            // 000000003020: C0021280 00000160
	s_load_dword s75, s[0:1], 0x170                            // 000000003028: C00212C0 00000170
	s_load_dword s76, s[0:1], 0x180                            // 000000003030: C0021300 00000180
	s_load_dword s63, s[0:1], 0x190                            // 000000003038: C0020FC0 00000190
	s_mov_b32 s2, s2                                           // 000000003040: BE820002
	s_mov_b32 s3, s3                                           // 000000003044: BE830003
	s_mov_b32 s4, s4                                           // 000000003048: BE840004
	s_waitcnt lgkmcnt(0)                                       // 00000000304C: BF8CC07F
	s_and_b32 s51, s51, 0xffff                                 // 000000003050: 8633FF33 0000FFFF
	s_load_dword s66, s[50:51], 0x4                            // 000000003058: C0021099 00000004
	s_load_dword s50, s[50:51], 0x0                            // 000000003060: C0020C99 00000000
	s_waitcnt lgkmcnt(0)                                       // 000000003068: BF8CC07F
	s_and_b32 s45, s45, 0xffff                                 // 00000000306C: 862DFF2D 0000FFFF
	s_and_b32 s47, s47, 0xffff                                 // 000000003074: 862FFF2F 0000FFFF
	s_and_b32 s9, s9, 0xffff                                   // 00000000307C: 8609FF09 0000FFFF
	s_mul_i32 s60, s66, s68                                    // 000000003084: 923C4442
	s_mul_i32 s60, s63, s60                                    // 000000003088: 923C3C3F
	s_mul_i32 s61, s66, 4                                      // 00000000308C: 923D8442
	s_mul_i32 s61, s63, s61                                    // 000000003090: 923D3D3F
	s_mov_b32 s22, s60                                         // 000000003094: BE96003C
	s_mov_b32 s26, -16                                         // 000000003098: BE9A00D0
	s_mov_b32 s14, -16                                         // 00000000309C: BE8E00D0
	s_mov_b32 s42, -16                                         // 0000000030A0: BEAA00D0
	s_mov_b32 s30, s61                                         // 0000000030A4: BE9E003D
	s_mov_b32 s34, 0x800                                       // 0000000030A8: BEA200FF 00000800
	s_mov_b32 s38, 0x800                                       // 0000000030B0: BEA600FF 00000800
	s_mov_b32 s18, -16                                         // 0000000030B8: BE9200D0
	s_mov_b32 s23, 0x20000                                     // 0000000030BC: BE9700FF 00020000
	s_mov_b32 s27, 0x20000                                     // 0000000030C4: BE9B00FF 00020000
	s_mov_b32 s15, 0x20000                                     // 0000000030CC: BE8F00FF 00020000
	s_mov_b32 s43, 0x20000                                     // 0000000030D4: BEAB00FF 00020000
	s_mov_b32 s31, 0x20000                                     // 0000000030DC: BE9F00FF 00020000
	s_mov_b32 s35, 0x20000                                     // 0000000030E4: BEA300FF 00020000
	s_mov_b32 s39, 0x20000                                     // 0000000030EC: BEA700FF 00020000
	s_mov_b32 s19, 0x20000                                     // 0000000030F4: BE9300FF 00020000
	s_and_b32 s21, s21, 0xffff                                 // 0000000030FC: 8615FF15 0000FFFF
	s_and_b32 s25, s25, 0xffff                                 // 000000003104: 8619FF19 0000FFFF
	s_and_b32 s13, s13, 0xffff                                 // 00000000310C: 860DFF0D 0000FFFF
	s_and_b32 s41, s41, 0xffff                                 // 000000003114: 8629FF29 0000FFFF
	s_and_b32 s29, s29, 0xffff                                 // 00000000311C: 861DFF1D 0000FFFF
	s_and_b32 s33, s33, 0xffff                                 // 000000003124: 8621FF21 0000FFFF
	s_and_b32 s37, s37, 0xffff                                 // 00000000312C: 8625FF25 0000FFFF
	s_and_b32 s17, s17, 0xffff                                 // 000000003134: 8611FF11 0000FFFF
	s_or_b32 s21, s21, 0x40000                                 // 00000000313C: 8715FF15 00040000
	s_or_b32 s25, s25, 0x40000                                 // 000000003144: 8719FF19 00040000
	s_or_b32 s13, s13, 0x40000                                 // 00000000314C: 870DFF0D 00040000
	s_or_b32 s41, s41, 0x40000                                 // 000000003154: 8729FF29 00040000
	s_or_b32 s29, s29, 0x40000                                 // 00000000315C: 871DFF1D 00040000
	s_or_b32 s33, s33, 0x40000                                 // 000000003164: 8721FF21 00040000
	s_or_b32 s37, s37, 0x40000                                 // 00000000316C: 8725FF25 00040000
	s_or_b32 s17, s17, 0x40000                                 // 000000003174: 8711FF11 00040000
	v_accvgpr_write_b32 a255, 0                                // 00000000317C: D3D940FF 18000080
	v_mov_b32_e32 v255, 0                                      // 000000003184: 7FFE0280
	s_waitcnt lgkmcnt(0)                                       // 000000003188: BF8CC07F
	s_mul_i32 s60, s3, 32                                      // 00000000318C: 923CA003
	s_cmp_lt_i32 s60, s50                                      // 000000003190: BF04323C
	s_cbranch_scc0 label_2BD7                                  // 000000003194: BF842AF1
	s_mov_b32 s80, 0                                           // 000000003198: BED00080
	s_mov_b32 s81, s64                                         // 00000000319C: BED10040
	s_mul_i32 s60, s3, 4                                       // 0000000031A0: 923C8403
	s_add_u32 s46, s60, s46                                    // 0000000031A4: 802E2E3C
	s_addc_u32 s47, 0, s47                                     // 0000000031A8: 822F2F80
	s_load_dword s5, s[46:47], 0x0                             // 0000000031AC: C0020157 00000000
	s_mul_i32 s60, s3, 32                                      // 0000000031B4: 923CA003
	s_mul_i32 s60, 4, s60                                      // 0000000031B8: 923C3C84
	v_and_b32_e32 v52, 15, v0                                  // 0000000031BC: 2668008F
	v_lshlrev_b32_e32 v52, 2, v52                              // 0000000031C0: 24686882
	v_add_u32_e32 v52, s60, v52                                // 0000000031C4: 6868683C
	v_mov_b32_e32 v53, 0                                       // 0000000031C8: 7E6A0280
	global_load_dword v6, v52, s[44:45]                        // 0000000031CC: DC508000 062C0034
	v_add_u32_e32 v52, 64, v52                                 // 0000000031D4: 686868C0
	global_load_dword v7, v52, s[44:45]                        // 0000000031D8: DC508000 072C0034
	s_mul_i32 s60, s3, 32                                      // 0000000031E0: 923CA003
	s_add_u32 s60, s7, s60                                     // 0000000031E4: 803C3C07
	s_mul_i32 s60, 4, s60                                      // 0000000031E8: 923C3C84
	s_add_u32 s44, s60, s44                                    // 0000000031EC: 802C2C3C
	s_addc_u32 s45, 0, s45                                     // 0000000031F0: 822D2D80
	s_load_dword s82, s[44:45], 0x0                            // 0000000031F4: C0021496 00000000
	s_load_dword s83, s[44:45], 0x10                           // 0000000031FC: C00214D6 00000010
	s_load_dword s84, s[44:45], 0x20                           // 000000003204: C0021516 00000020
	s_load_dword s85, s[44:45], 0x30                           // 00000000320C: C0021556 00000030
	s_load_dword s86, s[44:45], 0x40                           // 000000003214: C0021596 00000040
	s_load_dword s87, s[44:45], 0x50                           // 00000000321C: C00215D6 00000050
	s_load_dword s88, s[44:45], 0x60                           // 000000003224: C0021616 00000060
	s_load_dword s89, s[44:45], 0x70                           // 00000000322C: C0021656 00000070
	s_waitcnt lgkmcnt(0)                                       // 000000003234: BF8CC07F
	v_lshlrev_b32_e32 v52, 2, v0                               // 000000003238: 24680082
	s_lshr_b32 s61, s82, 24                                    // 00000000323C: 8F3D9852
	s_mul_i32 s61, s61, s68                                    // 000000003240: 923D443D
	s_mul_i32 s61, s61, s66                                    // 000000003244: 923D423D
	s_and_b32 s82, s82, 0xffffff                               // 000000003248: 8652FF52 00FFFFFF
	s_mul_i32 s60, s82, s68                                    // 000000003250: 923C4452
	s_add_u32 s60, s61, s60                                    // 000000003254: 803C3C3D
	v_add_u32_e64 v26, v52, s60                                // 000000003258: D134001A 00007934
	s_lshr_b32 s61, s83, 24                                    // 000000003260: 8F3D9853
	s_mul_i32 s61, s61, s68                                    // 000000003264: 923D443D
	s_mul_i32 s61, s61, s66                                    // 000000003268: 923D423D
	s_and_b32 s83, s83, 0xffffff                               // 00000000326C: 8653FF53 00FFFFFF
	s_mul_i32 s60, s83, s68                                    // 000000003274: 923C4453
	s_add_u32 s60, s61, s60                                    // 000000003278: 803C3C3D
	v_add_u32_e64 v27, v52, s60                                // 00000000327C: D134001B 00007934
	s_lshr_b32 s61, s84, 24                                    // 000000003284: 8F3D9854
	s_mul_i32 s61, s61, s68                                    // 000000003288: 923D443D
	s_mul_i32 s61, s61, s66                                    // 00000000328C: 923D423D
	s_and_b32 s84, s84, 0xffffff                               // 000000003290: 8654FF54 00FFFFFF
	s_mul_i32 s60, s84, s68                                    // 000000003298: 923C4454
	s_add_u32 s60, s61, s60                                    // 00000000329C: 803C3C3D
	v_add_u32_e64 v28, v52, s60                                // 0000000032A0: D134001C 00007934
	s_lshr_b32 s61, s85, 24                                    // 0000000032A8: 8F3D9855
	s_mul_i32 s61, s61, s68                                    // 0000000032AC: 923D443D
	s_mul_i32 s61, s61, s66                                    // 0000000032B0: 923D423D
	s_and_b32 s85, s85, 0xffffff                               // 0000000032B4: 8655FF55 00FFFFFF
	s_mul_i32 s60, s85, s68                                    // 0000000032BC: 923C4455
	s_add_u32 s60, s61, s60                                    // 0000000032C0: 803C3C3D
	v_add_u32_e64 v29, v52, s60                                // 0000000032C4: D134001D 00007934
	s_lshr_b32 s61, s86, 24                                    // 0000000032CC: 8F3D9856
	s_mul_i32 s61, s61, s68                                    // 0000000032D0: 923D443D
	s_mul_i32 s61, s61, s66                                    // 0000000032D4: 923D423D
	s_and_b32 s86, s86, 0xffffff                               // 0000000032D8: 8656FF56 00FFFFFF
	s_mul_i32 s60, s86, s68                                    // 0000000032E0: 923C4456
	s_add_u32 s60, s61, s60                                    // 0000000032E4: 803C3C3D
	v_add_u32_e64 v30, v52, s60                                // 0000000032E8: D134001E 00007934
	s_lshr_b32 s61, s87, 24                                    // 0000000032F0: 8F3D9857
	s_mul_i32 s61, s61, s68                                    // 0000000032F4: 923D443D
	s_mul_i32 s61, s61, s66                                    // 0000000032F8: 923D423D
	s_and_b32 s87, s87, 0xffffff                               // 0000000032FC: 8657FF57 00FFFFFF
	s_mul_i32 s60, s87, s68                                    // 000000003304: 923C4457
	s_add_u32 s60, s61, s60                                    // 000000003308: 803C3C3D
	v_add_u32_e64 v31, v52, s60                                // 00000000330C: D134001F 00007934
	s_lshr_b32 s61, s88, 24                                    // 000000003314: 8F3D9858
	s_mul_i32 s61, s61, s68                                    // 000000003318: 923D443D
	s_mul_i32 s61, s61, s66                                    // 00000000331C: 923D423D
	s_and_b32 s88, s88, 0xffffff                               // 000000003320: 8658FF58 00FFFFFF
	s_mul_i32 s60, s88, s68                                    // 000000003328: 923C4458
	s_add_u32 s60, s61, s60                                    // 00000000332C: 803C3C3D
	v_add_u32_e64 v32, v52, s60                                // 000000003330: D1340020 00007934
	s_lshr_b32 s61, s89, 24                                    // 000000003338: 8F3D9859
	s_mul_i32 s61, s61, s68                                    // 00000000333C: 923D443D
	s_mul_i32 s61, s61, s66                                    // 000000003340: 923D423D
	s_and_b32 s89, s89, 0xffffff                               // 000000003344: 8659FF59 00FFFFFF
	s_mul_i32 s60, s89, s68                                    // 00000000334C: 923C4459
	s_add_u32 s60, s61, s60                                    // 000000003350: 803C3C3D
	v_add_u32_e64 v33, v52, s60                                // 000000003354: D1340021 00007934
	v_lshlrev_b32_e32 v52, 2, v0                               // 00000000335C: 24680082
	s_mul_i32 s60, s82, s71                                    // 000000003360: 923C4752
	v_add_u32_e64 v80, v52, s60                                // 000000003364: D1340050 00007934
	v_mov_b32_e32 v81, 0                                       // 00000000336C: 7EA20280
	s_mul_i32 s60, s83, s71                                    // 000000003370: 923C4753
	v_add_u32_e64 v82, v52, s60                                // 000000003374: D1340052 00007934
	v_mov_b32_e32 v83, 0                                       // 00000000337C: 7EA60280
	s_mul_i32 s60, s84, s71                                    // 000000003380: 923C4754
	v_add_u32_e64 v84, v52, s60                                // 000000003384: D1340054 00007934
	v_mov_b32_e32 v85, 0                                       // 00000000338C: 7EAA0280
	s_mul_i32 s60, s85, s71                                    // 000000003390: 923C4755
	v_add_u32_e64 v86, v52, s60                                // 000000003394: D1340056 00007934
	v_mov_b32_e32 v87, 0                                       // 00000000339C: 7EAE0280
	s_mul_i32 s60, s86, s71                                    // 0000000033A0: 923C4756
	v_add_u32_e64 v88, v52, s60                                // 0000000033A4: D1340058 00007934
	v_mov_b32_e32 v89, 0                                       // 0000000033AC: 7EB20280
	s_mul_i32 s60, s87, s71                                    // 0000000033B0: 923C4757
	v_add_u32_e64 v90, v52, s60                                // 0000000033B4: D134005A 00007934
	v_mov_b32_e32 v91, 0                                       // 0000000033BC: 7EB60280
	s_mul_i32 s60, s88, s71                                    // 0000000033C0: 923C4758
	v_add_u32_e64 v92, v52, s60                                // 0000000033C4: D134005C 00007934
	v_mov_b32_e32 v93, 0                                       // 0000000033CC: 7EBA0280
	s_mul_i32 s60, s89, s71                                    // 0000000033D0: 923C4759
	v_add_u32_e64 v94, v52, s60                                // 0000000033D4: D134005E 00007934
	v_mov_b32_e32 v95, 0                                       // 0000000033DC: 7EBE0280
	s_mul_i32 s60, s7, 0x820                                   // 0000000033E0: 923CFF07 00000820
	s_add_u32 s50, 0, s60                                      // 0000000033E8: 80323C80
	s_add_u32 s51, 0x2080, s50                                 // 0000000033EC: 803332FF 00002080
	v_lshrrev_b32_e32 v52, 4, v0                               // 0000000033F4: 20680084
	v_lshlrev_b32_e32 v53, 2, v52                              // 0000000033F8: 246A6882
	v_and_b32_e32 v52, 15, v0                                  // 0000000033FC: 2668008F
	v_lshrrev_b32_e32 v54, 2, v52                              // 000000003400: 206C6882
	v_lshlrev_b32_e32 v54, 6, v54                              // 000000003404: 246C6C86
	v_add_u32_e32 v53, v54, v53                                // 000000003408: 686A6B36
	v_and_b32_e32 v52, 3, v0                                   // 00000000340C: 26680083
	v_mul_i32_i24_e32 v54, 0x208, v52                          // 000000003410: 0C6C68FF 00000208
	v_add_u32_e32 v53, v54, v53                                // 000000003418: 686A6B36
	v_lshlrev_b32_e32 v2, 2, v53                               // 00000000341C: 24046A82
	s_mul_i32 s60, s2, 0x200                                   // 000000003420: 923CFF02 00000200
	s_mul_i32 s60, s60, s69                                    // 000000003428: 923C453C
	s_mul_i32 s61, s5, s72                                     // 00000000342C: 923D4805
	s_add_u32 s60, s61, s60                                    // 000000003430: 803C3C3D
	s_add_u32 s24, s60, s24                                    // 000000003434: 8018183C
	s_addc_u32 s25, 0, s25                                     // 000000003438: 82191980
	s_mul_i32 s60, s7, 16                                      // 00000000343C: 923C9007
	s_mul_i32 s60, s60, s69                                    // 000000003440: 923C453C
	v_lshlrev_b32_e32 v34, 4, v0                               // 000000003444: 24440084
	v_add_u32_e32 v34, s60, v34                                // 000000003448: 6844443C
	s_mul_i32 s60, 64, s69                                     // 00000000344C: 923C45C0
	v_add_u32_e32 v35, s60, v34                                // 000000003450: 6846443C
	v_add_u32_e32 v36, s60, v35                                // 000000003454: 6848463C
	v_add_u32_e32 v37, s60, v36                                // 000000003458: 684A483C
	v_add_u32_e32 v38, s60, v37                                // 00000000345C: 684C4A3C
	v_add_u32_e32 v39, s60, v38                                // 000000003460: 684E4C3C
	v_add_u32_e32 v40, s60, v39                                // 000000003464: 68504E3C
	v_add_u32_e32 v41, s60, v40                                // 000000003468: 6852503C
	s_mov_b32 s92, s24                                         // 00000000346C: BEDC0018
	s_mov_b32 s93, s25                                         // 000000003470: BEDD0019
	s_mov_b32 s94, s26                                         // 000000003474: BEDE001A
	s_mov_b32 s95, s27                                         // 000000003478: BEDF001B
	s_mul_i32 s60, s69, s65                                    // 00000000347C: 923C4145
	s_add_u32 s92, s60, s92                                    // 000000003480: 805C5C3C
	s_addc_u32 s93, 0, s93                                     // 000000003484: 825D5D80
	s_mul_i32 s60, s2, 0x2000                                  // 000000003488: 923CFF02 00002000
	s_mul_i32 s61, s5, s73                                     // 000000003490: 923D4905
	s_add_u32 s60, s61, s60                                    // 000000003494: 803C3C3D
	s_add_u32 s12, s60, s12                                    // 000000003498: 800C0C3C
	s_addc_u32 s13, 0, s13                                     // 00000000349C: 820D0D80
	s_mul_i32 s60, s7, 16                                      // 0000000034A0: 923C9007
	s_mul_i32 s60, s60, s70                                    // 0000000034A4: 923C463C
	v_lshlrev_b32_e32 v42, 4, v0                               // 0000000034A8: 24540084
	v_add_u32_e32 v42, s60, v42                                // 0000000034AC: 6854543C
	s_mul_i32 s60, 64, s70                                     // 0000000034B0: 923C46C0
	v_add_u32_e32 v43, s60, v42                                // 0000000034B4: 6856543C
	v_add_u32_e32 v44, s60, v43                                // 0000000034B8: 6858563C
	v_add_u32_e32 v45, s60, v44                                // 0000000034BC: 685A583C
	s_mul_i32 s60, s70, 0x100                                  // 0000000034C0: 923CFF46 00000100
	s_mov_b32 s78, 0x400                                       // 0000000034C8: BECE00FF 00000400
	s_mul_i32 s61, s78, 7                                      // 0000000034D0: 923D874E
	s_sub_u32 s56, s60, s61                                    // 0000000034D4: 80B83D3C
	s_mul_i32 s60, s3, 32                                      // 0000000034D8: 923CA003
	s_mul_i32 s60, 4, s60                                      // 0000000034DC: 923C3C84
	s_add_u32 s40, s60, s40                                    // 0000000034E0: 8028283C
	s_addc_u32 s41, 0, s41                                     // 0000000034E4: 82292980
	v_and_b32_e32 v52, 15, v0                                  // 0000000034E8: 2668008F
	v_lshlrev_b32_e32 v8, 2, v52                               // 0000000034EC: 24106882
	v_add_u32_e32 v9, 64, v8                                   // 0000000034F0: 681210C0
	v_lshrrev_b32_e32 v52, 4, v0                               // 0000000034F4: 20680084
	v_lshlrev_b32_e32 v53, 2, v52                              // 0000000034F8: 246A6882
	v_and_b32_e32 v52, 15, v0                                  // 0000000034FC: 2668008F
	v_lshrrev_b32_e32 v54, 2, v52                              // 000000003500: 206C6882
	v_lshlrev_b32_e32 v54, 6, v54                              // 000000003504: 246C6C86
	v_add_u32_e32 v53, v54, v53                                // 000000003508: 686A6B36
	v_and_b32_e32 v52, 3, v0                                   // 00000000350C: 26680083
	v_add_u32_e32 v53, v52, v53                                // 000000003510: 686A6B34
	v_lshlrev_b32_e32 v10, 2, v53                              // 000000003514: 24146A82
	v_add_u32_e32 v11, 0x400, v10                              // 000000003518: 681614FF 00000400
	s_mul_i32 s60, s7, 16                                      // 000000003520: 923C9007
	s_mul_i32 s60, s60, 4                                      // 000000003524: 923C843C
	v_add_u32_e32 v10, s60, v10                                // 000000003528: 6814143C
	v_add_u32_e32 v11, s60, v11                                // 00000000352C: 6816163C
	v_mov_b32_e32 v5, v10                                      // 000000003530: 7E0A030A
	s_mul_i32 s60, s2, 0x200                                   // 000000003534: 923CFF02 00000200
	s_mul_i32 s60, s60, 4                                      // 00000000353C: 923C843C
	s_mul_i32 s61, s5, s74                                     // 000000003540: 923D4A05
	s_add_u32 s61, s61, s60                                    // 000000003544: 803D3C3D
	s_mul_i32 s62, s5, s76                                     // 000000003548: 923E4C05
	s_add_u32 s62, s62, s60                                    // 00000000354C: 803E3C3E
	s_add_u32 s32, s61, s32                                    // 000000003550: 8020203D
	s_addc_u32 s33, 0, s33                                     // 000000003554: 82212180
	s_add_u32 s36, s62, s36                                    // 000000003558: 8024243E
	s_addc_u32 s37, 0, s37                                     // 00000000355C: 82252580
	s_mul_i32 s60, s5, s75                                     // 000000003560: 923C4B05
	s_add_u32 s16, s60, s16                                    // 000000003564: 8010103C
	s_addc_u32 s17, 0, s17                                     // 000000003568: 82111180
	s_mov_b32 s57, 0x100                                       // 00000000356C: BEB900FF 00000100
	s_mov_b32 s58, 0x1000                                      // 000000003574: BEBA00FF 00001000
	s_mov_b32 s79, 0x400                                       // 00000000357C: BECF00FF 00000400
	s_mov_b32 s59, 0x200                                       // 000000003584: BEBB00FF 00000200
	s_mov_b32 s90, s58                                         // 00000000358C: BEDA003A
	s_mov_b32 s52, 0x7060302                                   // 000000003590: BEB400FF 07060302
	s_mov_b32 s53, 0x400                                       // 000000003598: BEB500FF 00000400
	s_mov_b32 s54, 0x40100                                     // 0000000035A0: BEB600FF 00040100
	s_mov_b32 s55, 0x4020100                                   // 0000000035A8: BEB700FF 04020100
	s_mov_b32 s6, 0x3fb8aa3b                                   // 0000000035B0: BE8600FF 3FB8AA3B
	s_mov_b32 s77, 0xbd92220c                                  // 0000000035B8: BECD00FF BD92220C
	s_mov_b32 m0, s50                                          // 0000000035C0: BEFC0032
	v_mov_b32_e32 v1, 0xbfcc4231                               // 0000000035C4: 7E0202FF BFCC4231
	v_mov_b32_e32 v47, 0xffff0000                              // 0000000035CC: 7E5E02FF FFFF0000
	v_mov_b32_e32 v48, 0x7fff0000                              // 0000000035D4: 7E6002FF 7FFF0000
	v_mov_b32_e32 v49, 0x7fff                                  // 0000000035DC: 7E6202FF 00007FFF
	s_waitcnt vmcnt(0) expcnt(0) lgkmcnt(0)                    // 0000000035E4: BF8C0000
	v_lshrrev_b32_e32 v52, 24, v6                              // 0000000035E8: 20680C98
	v_mul_i32_i24_e32 v52, s66, v52                            // 0000000035EC: 0C686842
	v_and_b32_e32 v53, 0xffffff, v6                            // 0000000035F0: 266A0CFF 00FFFFFF
	v_add_u32_e32 v6, v52, v53                                 // 0000000035F8: 680C6B34
	v_lshrrev_b32_e32 v52, 24, v7                              // 0000000035FC: 20680E98
	v_mul_i32_i24_e32 v52, s66, v52                            // 000000003600: 0C686842
	v_and_b32_e32 v53, 0xffffff, v7                            // 000000003604: 266A0EFF 00FFFFFF
	v_add_u32_e32 v7, v52, v53                                 // 00000000360C: 680E6B34
	v_lshlrev_b32_e32 v6, 2, v6                                // 000000003610: 240C0C82
	v_lshlrev_b32_e32 v7, 2, v7                                // 000000003614: 240E0E82
	buffer_load_dword v14, v6, s[28:31], 0 offen               // 000000003618: E0501000 80070E06
	buffer_load_dword v15, v7, s[28:31], 0 offen               // 000000003620: E0501000 80070F07
	buffer_load_dword v16, v10, s[32:35], 0 offen              // 000000003628: E0501000 8008100A
	buffer_load_dword v17, v11, s[32:35], 0 offen              // 000000003630: E0501000 8008110B
	s_mul_i32 s60, 4, s65                                      // 000000003638: 923C4184
	s_add_u32 s32, s60, s32                                    // 00000000363C: 8020203C
	s_addc_u32 s33, 0, s33                                     // 000000003640: 82212180
	buffer_load_dword v50, v10, s[32:35], 0 offen              // 000000003644: E0501000 8008320A
	buffer_load_dword v51, v11, s[32:35], 0 offen              // 00000000364C: E0501000 8008330B
	buffer_load_dword v18, v10, s[36:39], 0 offen              // 000000003654: E0501000 8009120A
	buffer_load_dword v19, v11, s[36:39], 0 offen              // 00000000365C: E0501000 8009130B
	buffer_load_dword v20, v8, s[40:43], 0 offen               // 000000003664: E0501000 800A1408
	buffer_load_dword v21, v9, s[40:43], 0 offen               // 00000000366C: E0501000 800A1509
	buffer_load_dword v26, s[20:23], 0 offen lds               // 000000003674: E0511000 8005001A
	s_add_u32 m0, 0x100, s50                                   // 00000000367C: 807C32FF 00000100
	buffer_load_dword v27, s[20:23], 0 offen lds               // 000000003684: E0511000 8005001B
	s_add_u32 m0, 0x200, s50                                   // 00000000368C: 807C32FF 00000200
	buffer_load_dword v28, s[20:23], 0 offen lds               // 000000003694: E0511000 8005001C
	s_add_u32 m0, 0x300, s50                                   // 00000000369C: 807C32FF 00000300
	buffer_load_dword v29, s[20:23], 0 offen lds               // 0000000036A4: E0511000 8005001D
	s_add_u32 m0, 0x400, s50                                   // 0000000036AC: 807C32FF 00000400
	buffer_load_dword v30, s[20:23], 0 offen lds               // 0000000036B4: E0511000 8005001E
	s_add_u32 m0, 0x500, s50                                   // 0000000036BC: 807C32FF 00000500
	buffer_load_dword v31, s[20:23], 0 offen lds               // 0000000036C4: E0511000 8005001F
	s_add_u32 m0, 0x600, s50                                   // 0000000036CC: 807C32FF 00000600
	buffer_load_dword v32, s[20:23], 0 offen lds               // 0000000036D4: E0511000 80050020
	s_add_u32 m0, 0x700, s50                                   // 0000000036DC: 807C32FF 00000700
	buffer_load_dword v33, s[20:23], 0 offen lds               // 0000000036E4: E0511000 80050021
	s_add_u32 m0, 0, s51                                       // 0000000036EC: 807C3380
	s_add_u32 s20, s57, s20                                    // 0000000036F0: 80141439
	s_addc_u32 s21, 0, s21                                     // 0000000036F4: 82151580
	buffer_load_dwordx4 a[0:3], v34, s[24:27], 0 offen         // 0000000036F8: E05C1000 80860022
	buffer_load_dwordx4 a[4:7], v34, s[24:27], 0 offen offset:1024// 000000003700: E05C1400 80860422
	buffer_load_dwordx4 a[8:11], v34, s[24:27], 0 offen offset:2048// 000000003708: E05C1800 80860822
	buffer_load_dwordx4 a[12:15], v34, s[24:27], 0 offen offset:3072// 000000003710: E05C1C00 80860C22
	buffer_load_dwordx4 a[16:19], v35, s[24:27], 0 offen       // 000000003718: E05C1000 80861023
	buffer_load_dwordx4 a[20:23], v35, s[24:27], 0 offen offset:1024// 000000003720: E05C1400 80861423
	buffer_load_dwordx4 a[24:27], v35, s[24:27], 0 offen offset:2048// 000000003728: E05C1800 80861823
	buffer_load_dwordx4 a[28:31], v35, s[24:27], 0 offen offset:3072// 000000003730: E05C1C00 80861C23
	buffer_load_dwordx4 a[32:35], v36, s[24:27], 0 offen       // 000000003738: E05C1000 80862024
	buffer_load_dwordx4 a[36:39], v36, s[24:27], 0 offen offset:1024// 000000003740: E05C1400 80862424
	buffer_load_dwordx4 a[40:43], v36, s[24:27], 0 offen offset:2048// 000000003748: E05C1800 80862824
	buffer_load_dwordx4 a[44:47], v36, s[24:27], 0 offen offset:3072// 000000003750: E05C1C00 80862C24
	buffer_load_dwordx4 a[48:51], v37, s[24:27], 0 offen       // 000000003758: E05C1000 80863025
	buffer_load_dwordx4 a[52:55], v37, s[24:27], 0 offen offset:1024// 000000003760: E05C1400 80863425
	buffer_load_dwordx4 a[56:59], v37, s[24:27], 0 offen offset:2048// 000000003768: E05C1800 80863825
	buffer_load_dwordx4 a[60:63], v37, s[24:27], 0 offen offset:3072// 000000003770: E05C1C00 80863C25
	buffer_load_dwordx4 a[64:67], v38, s[24:27], 0 offen       // 000000003778: E05C1000 80864026
	buffer_load_dwordx4 a[68:71], v38, s[24:27], 0 offen offset:1024// 000000003780: E05C1400 80864426
	buffer_load_dwordx4 a[72:75], v38, s[24:27], 0 offen offset:2048// 000000003788: E05C1800 80864826
	buffer_load_dwordx4 a[76:79], v38, s[24:27], 0 offen offset:3072// 000000003790: E05C1C00 80864C26
	buffer_load_dwordx4 a[80:83], v39, s[24:27], 0 offen       // 000000003798: E05C1000 80865027
	buffer_load_dwordx4 a[84:87], v39, s[24:27], 0 offen offset:1024// 0000000037A0: E05C1400 80865427
	buffer_load_dwordx4 a[88:91], v39, s[24:27], 0 offen offset:2048// 0000000037A8: E05C1800 80865827
	buffer_load_dwordx4 a[92:95], v39, s[24:27], 0 offen offset:3072// 0000000037B0: E05C1C00 80865C27
	buffer_load_dwordx4 a[96:99], v40, s[24:27], 0 offen       // 0000000037B8: E05C1000 80866028
	buffer_load_dwordx4 a[100:103], v40, s[24:27], 0 offen offset:1024// 0000000037C0: E05C1400 80866428
	buffer_load_dwordx4 a[104:107], v40, s[24:27], 0 offen offset:2048// 0000000037C8: E05C1800 80866828
	buffer_load_dwordx4 a[108:111], v40, s[24:27], 0 offen offset:3072// 0000000037D0: E05C1C00 80866C28
	buffer_load_dwordx4 a[112:115], v41, s[24:27], 0 offen     // 0000000037D8: E05C1000 80867029
	buffer_load_dwordx4 a[116:119], v41, s[24:27], 0 offen offset:1024// 0000000037E0: E05C1400 80867429
	buffer_load_dwordx4 a[120:123], v41, s[24:27], 0 offen offset:2048// 0000000037E8: E05C1800 80867829
	buffer_load_dwordx4 a[124:127], v41, s[24:27], 0 offen offset:3072// 0000000037F0: E05C1C00 80867C29
	s_add_u32 s24, s58, s24                                    // 0000000037F8: 8018183A
	s_addc_u32 s25, 0, s25                                     // 0000000037FC: 82191980
	v_mov_b32_e32 v128, 0                                      // 000000003800: 7F000280
	v_mov_b32_e32 v64, 0                                       // 000000003804: 7E800280
	v_mov_b32_e32 v129, 0                                      // 000000003808: 7F020280
	v_mov_b32_e32 v65, 0                                       // 00000000380C: 7E820280
	v_mov_b32_e32 v130, 0                                      // 000000003810: 7F040280
	v_mov_b32_e32 v66, 0                                       // 000000003814: 7E840280
	v_mov_b32_e32 v131, 0                                      // 000000003818: 7F060280
	v_mov_b32_e32 v67, 0                                       // 00000000381C: 7E860280
	v_mov_b32_e32 v132, 0                                      // 000000003820: 7F080280
	v_mov_b32_e32 v68, 0                                       // 000000003824: 7E880280
	v_mov_b32_e32 v133, 0                                      // 000000003828: 7F0A0280
	v_mov_b32_e32 v69, 0                                       // 00000000382C: 7E8A0280
	v_mov_b32_e32 v134, 0                                      // 000000003830: 7F0C0280
	v_mov_b32_e32 v70, 0                                       // 000000003834: 7E8C0280
	v_mov_b32_e32 v135, 0                                      // 000000003838: 7F0E0280
	v_mov_b32_e32 v71, 0                                       // 00000000383C: 7E8E0280
	v_mov_b32_e32 v136, 0                                      // 000000003840: 7F100280
	v_mov_b32_e32 v72, 0                                       // 000000003844: 7E900280
	v_mov_b32_e32 v137, 0                                      // 000000003848: 7F120280
	v_mov_b32_e32 v73, 0                                       // 00000000384C: 7E920280
	v_mov_b32_e32 v138, 0                                      // 000000003850: 7F140280
	v_mov_b32_e32 v74, 0                                       // 000000003854: 7E940280
	v_mov_b32_e32 v139, 0                                      // 000000003858: 7F160280
	v_mov_b32_e32 v75, 0                                       // 00000000385C: 7E960280
	v_mov_b32_e32 v140, 0                                      // 000000003860: 7F180280
	v_mov_b32_e32 v76, 0                                       // 000000003864: 7E980280
	v_mov_b32_e32 v141, 0                                      // 000000003868: 7F1A0280
	v_mov_b32_e32 v77, 0                                       // 00000000386C: 7E9A0280
	v_mov_b32_e32 v142, 0                                      // 000000003870: 7F1C0280
	v_mov_b32_e32 v78, 0                                       // 000000003874: 7E9C0280
	v_mov_b32_e32 v143, 0                                      // 000000003878: 7F1E0280
	v_mov_b32_e32 v79, 0                                       // 00000000387C: 7E9E0280
	v_mov_b32_e32 v144, 0                                      // 000000003880: 7F200280
	v_mov_b32_e32 v80, 0                                       // 000000003884: 7EA00280
	v_mov_b32_e32 v145, 0                                      // 000000003888: 7F220280
	v_mov_b32_e32 v81, 0                                       // 00000000388C: 7EA20280
	v_mov_b32_e32 v146, 0                                      // 000000003890: 7F240280
	v_mov_b32_e32 v82, 0                                       // 000000003894: 7EA40280
	v_mov_b32_e32 v147, 0                                      // 000000003898: 7F260280
	v_mov_b32_e32 v83, 0                                       // 00000000389C: 7EA60280
	v_mov_b32_e32 v148, 0                                      // 0000000038A0: 7F280280
	v_mov_b32_e32 v84, 0                                       // 0000000038A4: 7EA80280
	v_mov_b32_e32 v149, 0                                      // 0000000038A8: 7F2A0280
	v_mov_b32_e32 v85, 0                                       // 0000000038AC: 7EAA0280
	v_mov_b32_e32 v150, 0                                      // 0000000038B0: 7F2C0280
	v_mov_b32_e32 v86, 0                                       // 0000000038B4: 7EAC0280
	v_mov_b32_e32 v151, 0                                      // 0000000038B8: 7F2E0280
	v_mov_b32_e32 v87, 0                                       // 0000000038BC: 7EAE0280
	v_mov_b32_e32 v152, 0                                      // 0000000038C0: 7F300280
	v_mov_b32_e32 v88, 0                                       // 0000000038C4: 7EB00280
	v_mov_b32_e32 v153, 0                                      // 0000000038C8: 7F320280
	v_mov_b32_e32 v89, 0                                       // 0000000038CC: 7EB20280
	v_mov_b32_e32 v154, 0                                      // 0000000038D0: 7F340280
	v_mov_b32_e32 v90, 0                                       // 0000000038D4: 7EB40280
	v_mov_b32_e32 v155, 0                                      // 0000000038D8: 7F360280
	v_mov_b32_e32 v91, 0                                       // 0000000038DC: 7EB60280
	v_mov_b32_e32 v156, 0                                      // 0000000038E0: 7F380280
	v_mov_b32_e32 v92, 0                                       // 0000000038E4: 7EB80280
	v_mov_b32_e32 v157, 0                                      // 0000000038E8: 7F3A0280
	v_mov_b32_e32 v93, 0                                       // 0000000038EC: 7EBA0280
	v_mov_b32_e32 v158, 0                                      // 0000000038F0: 7F3C0280
	v_mov_b32_e32 v94, 0                                       // 0000000038F4: 7EBC0280
	v_mov_b32_e32 v159, 0                                      // 0000000038F8: 7F3E0280
	v_mov_b32_e32 v95, 0                                       // 0000000038FC: 7EBE0280
	v_mov_b32_e32 v160, 0                                      // 000000003900: 7F400280
	v_mov_b32_e32 v96, 0                                       // 000000003904: 7EC00280
	v_mov_b32_e32 v161, 0                                      // 000000003908: 7F420280
	v_mov_b32_e32 v97, 0                                       // 00000000390C: 7EC20280
	v_mov_b32_e32 v162, 0                                      // 000000003910: 7F440280
	v_mov_b32_e32 v98, 0                                       // 000000003914: 7EC40280
	v_mov_b32_e32 v163, 0                                      // 000000003918: 7F460280
	v_mov_b32_e32 v99, 0                                       // 00000000391C: 7EC60280
	v_mov_b32_e32 v164, 0                                      // 000000003920: 7F480280
	v_mov_b32_e32 v100, 0                                      // 000000003924: 7EC80280
	v_mov_b32_e32 v165, 0                                      // 000000003928: 7F4A0280
	v_mov_b32_e32 v101, 0                                      // 00000000392C: 7ECA0280
	v_mov_b32_e32 v166, 0                                      // 000000003930: 7F4C0280
	v_mov_b32_e32 v102, 0                                      // 000000003934: 7ECC0280
	v_mov_b32_e32 v167, 0                                      // 000000003938: 7F4E0280
	v_mov_b32_e32 v103, 0                                      // 00000000393C: 7ECE0280
	v_mov_b32_e32 v168, 0                                      // 000000003940: 7F500280
	v_mov_b32_e32 v104, 0                                      // 000000003944: 7ED00280
	v_mov_b32_e32 v169, 0                                      // 000000003948: 7F520280
	v_mov_b32_e32 v105, 0                                      // 00000000394C: 7ED20280
	v_mov_b32_e32 v170, 0                                      // 000000003950: 7F540280
	v_mov_b32_e32 v106, 0                                      // 000000003954: 7ED40280
	v_mov_b32_e32 v171, 0                                      // 000000003958: 7F560280
	v_mov_b32_e32 v107, 0                                      // 00000000395C: 7ED60280
	v_mov_b32_e32 v172, 0                                      // 000000003960: 7F580280
	v_mov_b32_e32 v108, 0                                      // 000000003964: 7ED80280
	v_mov_b32_e32 v173, 0                                      // 000000003968: 7F5A0280
	v_mov_b32_e32 v109, 0                                      // 00000000396C: 7EDA0280
	v_mov_b32_e32 v174, 0                                      // 000000003970: 7F5C0280
	v_mov_b32_e32 v110, 0                                      // 000000003974: 7EDC0280
	v_mov_b32_e32 v175, 0                                      // 000000003978: 7F5E0280
	v_mov_b32_e32 v111, 0                                      // 00000000397C: 7EDE0280
	v_mov_b32_e32 v176, 0                                      // 000000003980: 7F600280
	v_mov_b32_e32 v112, 0                                      // 000000003984: 7EE00280
	v_mov_b32_e32 v177, 0                                      // 000000003988: 7F620280
	v_mov_b32_e32 v113, 0                                      // 00000000398C: 7EE20280
	v_mov_b32_e32 v178, 0                                      // 000000003990: 7F640280
	v_mov_b32_e32 v114, 0                                      // 000000003994: 7EE40280
	v_mov_b32_e32 v179, 0                                      // 000000003998: 7F660280
	v_mov_b32_e32 v115, 0                                      // 00000000399C: 7EE60280
	v_mov_b32_e32 v180, 0                                      // 0000000039A0: 7F680280
	v_mov_b32_e32 v116, 0                                      // 0000000039A4: 7EE80280
	v_mov_b32_e32 v181, 0                                      // 0000000039A8: 7F6A0280
	v_mov_b32_e32 v117, 0                                      // 0000000039AC: 7EEA0280
	v_mov_b32_e32 v182, 0                                      // 0000000039B0: 7F6C0280
	v_mov_b32_e32 v118, 0                                      // 0000000039B4: 7EEC0280
	v_mov_b32_e32 v183, 0                                      // 0000000039B8: 7F6E0280
	v_mov_b32_e32 v119, 0                                      // 0000000039BC: 7EEE0280
	v_mov_b32_e32 v184, 0                                      // 0000000039C0: 7F700280
	v_mov_b32_e32 v120, 0                                      // 0000000039C4: 7EF00280
	v_mov_b32_e32 v185, 0                                      // 0000000039C8: 7F720280
	v_mov_b32_e32 v121, 0                                      // 0000000039CC: 7EF20280
	v_mov_b32_e32 v186, 0                                      // 0000000039D0: 7F740280
	v_mov_b32_e32 v122, 0                                      // 0000000039D4: 7EF40280
	v_mov_b32_e32 v187, 0                                      // 0000000039D8: 7F760280
	v_mov_b32_e32 v123, 0                                      // 0000000039DC: 7EF60280
	v_mov_b32_e32 v188, 0                                      // 0000000039E0: 7F780280
	v_mov_b32_e32 v124, 0                                      // 0000000039E4: 7EF80280
	v_mov_b32_e32 v189, 0                                      // 0000000039E8: 7F7A0280
	v_mov_b32_e32 v125, 0                                      // 0000000039EC: 7EFA0280
	v_mov_b32_e32 v190, 0                                      // 0000000039F0: 7F7C0280
	v_mov_b32_e32 v126, 0                                      // 0000000039F4: 7EFC0280
	v_mov_b32_e32 v191, 0                                      // 0000000039F8: 7F7E0280
	v_mov_b32_e32 v127, 0                                      // 0000000039FC: 7EFE0280
	v_lshrrev_b32_e32 v52, 4, v0                               // 000000003A00: 20680084
	v_mul_i32_i24_e32 v3, 34, v52                              // 000000003A04: 0C0668A2
	v_and_b32_e32 v52, 15, v0                                  // 000000003A08: 2668008F
	v_mul_i32_i24_e32 v53, 2, v52                              // 000000003A0C: 0C6A6882
	v_add_u32_e32 v3, v53, v3                                  // 000000003A10: 68060735
	s_mul_i32 s60, s7, 0x88                                    // 000000003A14: 923CFF07 00000088
	v_add_u32_e32 v3, s60, v3                                  // 000000003A1C: 6806063C
	v_lshlrev_b32_e32 v3, 2, v3                                // 000000003A20: 24060682
	v_lshrrev_b32_e32 v52, 1, v0                               // 000000003A24: 20680081
	v_mul_i32_i24_e32 v4, 34, v52                              // 000000003A28: 0C0868A2
	v_and_b32_e32 v53, 1, v0                                   // 000000003A2C: 266A0081
	v_add_u32_e32 v4, v53, v4                                  // 000000003A30: 68080935
	s_mul_i32 s60, s7, 2                                       // 000000003A34: 923C8207
	v_add_u32_e32 v4, s60, v4                                  // 000000003A38: 6808083C
	v_lshlrev_b32_e32 v4, 2, v4                                // 000000003A3C: 24080882
	s_waitcnt vmcnt(32)                                        // 000000003A40: BF8C8F70
	s_barrier                                                  // 000000003A44: BF8A0000
	ds_read_b128 v[192:195], v2                                // 000000003A48: D9FE0000 C0000002
	ds_read_b128 v[196:199], v2 offset:64                      // 000000003A50: D9FE0040 C4000002
	ds_read_b128 v[200:203], v2 offset:128                     // 000000003A58: D9FE0080 C8000002
	ds_read_b128 v[204:207], v2 offset:192                     // 000000003A60: D9FE00C0 CC000002
	ds_read_b128 v[208:211], v2 offset:1024                    // 000000003A68: D9FE0400 D0000002
	ds_read_b128 v[212:215], v2 offset:1088                    // 000000003A70: D9FE0440 D4000002
	ds_read_b128 v[216:219], v2 offset:1152                    // 000000003A78: D9FE0480 D8000002
	ds_read_b128 v[220:223], v2 offset:1216                    // 000000003A80: D9FE04C0 DC000002
	s_cmp_lt_i32 s7, 2                                         // 000000003A88: BF048207
	s_cbranch_scc0 label_177D                                  // 000000003A8C: BF841459

0000000000003a90 <label_0324>:
	s_waitcnt vmcnt(24) lgkmcnt(0)                             // 000000003A90: BF8C4078
	s_barrier                                                  // 000000003A94: BF8A0000
	v_mfma_i32_16x16x32_i8 v[128:131], a[0:1], v[192:193], v[128:131]// 000000003A98: D3D70080 0E038100
	v_mfma_i32_16x16x32_i8 v[128:131], a[2:3], v[194:195], v[128:131]// 000000003AA0: D3D70080 0E038502
	buffer_load_dwordx4 a[128:131], v34, s[92:95], 0 offen     // 000000003AA8: E05C1000 80978022
	v_mfma_i32_16x16x32_i8 v[128:131], a[4:5], v[196:197], v[128:131]// 000000003AB0: D3D70080 0E038904
	v_mfma_i32_16x16x32_i8 v[128:131], a[6:7], v[198:199], v[128:131]// 000000003AB8: D3D70080 0E038D06
	buffer_load_dword v26, s[20:23], 0 offen lds               // 000000003AC0: E0511000 8005001A
	s_add_u32 m0, 0x100, s51                                   // 000000003AC8: 807C33FF 00000100
	v_mfma_i32_16x16x32_i8 v[128:131], a[8:9], v[200:201], v[128:131]// 000000003AD0: D3D70080 0E039108
	v_mfma_i32_16x16x32_i8 v[128:131], a[10:11], v[202:203], v[128:131]// 000000003AD8: D3D70080 0E03950A
	buffer_load_dwordx4 a[132:135], v34, s[92:95], 0 offen offset:1024// 000000003AE0: E05C1400 80978422
	v_mfma_i32_16x16x32_i8 v[128:131], a[12:13], v[204:205], v[128:131]// 000000003AE8: D3D70080 0E03990C
	v_mfma_i32_16x16x32_i8 v[128:131], a[14:15], v[206:207], v[128:131]// 000000003AF0: D3D70080 0E039D0E
	buffer_load_dword v27, s[20:23], 0 offen lds               // 000000003AF8: E0511000 8005001B
	s_add_u32 m0, 0x200, s51                                   // 000000003B00: 807C33FF 00000200
	v_mfma_i32_16x16x32_i8 v[132:135], a[0:1], v[208:209], v[132:135]// 000000003B08: D3D70084 0E13A100
	v_mfma_i32_16x16x32_i8 v[132:135], a[2:3], v[210:211], v[132:135]// 000000003B10: D3D70084 0E13A502
	buffer_load_dwordx4 a[136:139], v34, s[92:95], 0 offen offset:2048// 000000003B18: E05C1800 80978822
	v_mfma_i32_16x16x32_i8 v[132:135], a[4:5], v[212:213], v[132:135]// 000000003B20: D3D70084 0E13A904
	v_mfma_i32_16x16x32_i8 v[132:135], a[6:7], v[214:215], v[132:135]// 000000003B28: D3D70084 0E13AD06
	buffer_load_dword v28, s[20:23], 0 offen lds               // 000000003B30: E0511000 8005001C
	s_add_u32 m0, 0x300, s51                                   // 000000003B38: 807C33FF 00000300
	v_mfma_i32_16x16x32_i8 v[132:135], a[8:9], v[216:217], v[132:135]// 000000003B40: D3D70084 0E13B108
	v_mfma_i32_16x16x32_i8 v[132:135], a[10:11], v[218:219], v[132:135]// 000000003B48: D3D70084 0E13B50A
	buffer_load_dwordx4 a[140:143], v34, s[92:95], 0 offen offset:3072// 000000003B50: E05C1C00 80978C22
	v_mfma_i32_16x16x32_i8 v[132:135], a[12:13], v[220:221], v[132:135]// 000000003B58: D3D70084 0E13B90C
	v_mfma_i32_16x16x32_i8 v[132:135], a[14:15], v[222:223], v[132:135]// 000000003B60: D3D70084 0E13BD0E
	buffer_load_dword v29, s[20:23], 0 offen lds               // 000000003B68: E0511000 8005001D
	s_add_u32 m0, 0x400, s51                                   // 000000003B70: 807C33FF 00000400
	v_mfma_i32_16x16x32_i8 v[136:139], a[16:17], v[192:193], v[136:139]// 000000003B78: D3D70088 0E238110
	v_mfma_i32_16x16x32_i8 v[136:139], a[18:19], v[194:195], v[136:139]// 000000003B80: D3D70088 0E238512
	buffer_load_dwordx4 a[144:147], v35, s[92:95], 0 offen     // 000000003B88: E05C1000 80979023
	v_mfma_i32_16x16x32_i8 v[136:139], a[20:21], v[196:197], v[136:139]// 000000003B90: D3D70088 0E238914
	v_mfma_i32_16x16x32_i8 v[136:139], a[22:23], v[198:199], v[136:139]// 000000003B98: D3D70088 0E238D16
	buffer_load_dword v30, s[20:23], 0 offen lds               // 000000003BA0: E0511000 8005001E
	s_add_u32 m0, 0x500, s51                                   // 000000003BA8: 807C33FF 00000500
	v_mfma_i32_16x16x32_i8 v[136:139], a[24:25], v[200:201], v[136:139]// 000000003BB0: D3D70088 0E239118
	v_mfma_i32_16x16x32_i8 v[136:139], a[26:27], v[202:203], v[136:139]// 000000003BB8: D3D70088 0E23951A
	buffer_load_dwordx4 a[148:151], v35, s[92:95], 0 offen offset:1024// 000000003BC0: E05C1400 80979423
	v_mfma_i32_16x16x32_i8 v[136:139], a[28:29], v[204:205], v[136:139]// 000000003BC8: D3D70088 0E23991C
	v_mfma_i32_16x16x32_i8 v[136:139], a[30:31], v[206:207], v[136:139]// 000000003BD0: D3D70088 0E239D1E
	buffer_load_dword v31, s[20:23], 0 offen lds               // 000000003BD8: E0511000 8005001F
	s_add_u32 m0, 0x600, s51                                   // 000000003BE0: 807C33FF 00000600
	v_mfma_i32_16x16x32_i8 v[140:143], a[16:17], v[208:209], v[140:143]// 000000003BE8: D3D7008C 0E33A110
	v_mfma_i32_16x16x32_i8 v[140:143], a[18:19], v[210:211], v[140:143]// 000000003BF0: D3D7008C 0E33A512
	buffer_load_dwordx4 a[152:155], v35, s[92:95], 0 offen offset:2048// 000000003BF8: E05C1800 80979823
	v_mfma_i32_16x16x32_i8 v[140:143], a[20:21], v[212:213], v[140:143]// 000000003C00: D3D7008C 0E33A914
	v_mfma_i32_16x16x32_i8 v[140:143], a[22:23], v[214:215], v[140:143]// 000000003C08: D3D7008C 0E33AD16
	buffer_load_dword v32, s[20:23], 0 offen lds               // 000000003C10: E0511000 80050020
	s_add_u32 m0, 0x700, s51                                   // 000000003C18: 807C33FF 00000700
	v_mfma_i32_16x16x32_i8 v[140:143], a[24:25], v[216:217], v[140:143]// 000000003C20: D3D7008C 0E33B118
	v_mfma_i32_16x16x32_i8 v[140:143], a[26:27], v[218:219], v[140:143]// 000000003C28: D3D7008C 0E33B51A
	buffer_load_dwordx4 a[156:159], v35, s[92:95], 0 offen offset:3072// 000000003C30: E05C1C00 80979C23
	v_mfma_i32_16x16x32_i8 v[140:143], a[28:29], v[220:221], v[140:143]// 000000003C38: D3D7008C 0E33B91C
	v_mfma_i32_16x16x32_i8 v[140:143], a[30:31], v[222:223], v[140:143]// 000000003C40: D3D7008C 0E33BD1E
	buffer_load_dword v33, s[20:23], 0 offen lds               // 000000003C48: E0511000 80050021
	s_add_u32 m0, 0, s50                                       // 000000003C50: 807C3280
	s_waitcnt vmcnt(36)                                        // 000000003C54: BF8C8F74
	v_mfma_i32_16x16x32_i8 v[144:147], a[32:33], v[192:193], v[144:147]// 000000003C58: D3D70090 0E438120
	v_mfma_i32_16x16x32_i8 v[144:147], a[34:35], v[194:195], v[144:147]// 000000003C60: D3D70090 0E438522
	buffer_load_dwordx4 a[160:163], v36, s[92:95], 0 offen     // 000000003C68: E05C1000 8097A024
	v_mfma_i32_16x16x32_i8 v[144:147], a[36:37], v[196:197], v[144:147]// 000000003C70: D3D70090 0E438924
	v_mfma_i32_16x16x32_i8 v[144:147], a[38:39], v[198:199], v[144:147]// 000000003C78: D3D70090 0E438D26
	v_mfma_i32_16x16x32_i8 v[144:147], a[40:41], v[200:201], v[144:147]// 000000003C80: D3D70090 0E439128
	v_mfma_i32_16x16x32_i8 v[144:147], a[42:43], v[202:203], v[144:147]// 000000003C88: D3D70090 0E43952A
	buffer_load_dwordx4 a[164:167], v36, s[92:95], 0 offen offset:1024// 000000003C90: E05C1400 8097A424
	v_mfma_i32_16x16x32_i8 v[144:147], a[44:45], v[204:205], v[144:147]// 000000003C98: D3D70090 0E43992C
	v_mfma_i32_16x16x32_i8 v[144:147], a[46:47], v[206:207], v[144:147]// 000000003CA0: D3D70090 0E439D2E
	v_mfma_i32_16x16x32_i8 v[148:151], a[32:33], v[208:209], v[148:151]// 000000003CA8: D3D70094 0E53A120
	v_mfma_i32_16x16x32_i8 v[148:151], a[34:35], v[210:211], v[148:151]// 000000003CB0: D3D70094 0E53A522
	buffer_load_dwordx4 a[168:171], v36, s[92:95], 0 offen offset:2048// 000000003CB8: E05C1800 8097A824
	v_mfma_i32_16x16x32_i8 v[148:151], a[36:37], v[212:213], v[148:151]// 000000003CC0: D3D70094 0E53A924
	v_mfma_i32_16x16x32_i8 v[148:151], a[38:39], v[214:215], v[148:151]// 000000003CC8: D3D70094 0E53AD26
	v_mfma_i32_16x16x32_i8 v[148:151], a[40:41], v[216:217], v[148:151]// 000000003CD0: D3D70094 0E53B128
	v_mfma_i32_16x16x32_i8 v[148:151], a[42:43], v[218:219], v[148:151]// 000000003CD8: D3D70094 0E53B52A
	buffer_load_dwordx4 a[172:175], v36, s[92:95], 0 offen offset:3072// 000000003CE0: E05C1C00 8097AC24
	v_mfma_i32_16x16x32_i8 v[148:151], a[44:45], v[220:221], v[148:151]// 000000003CE8: D3D70094 0E53B92C
	v_mfma_i32_16x16x32_i8 v[148:151], a[46:47], v[222:223], v[148:151]// 000000003CF0: D3D70094 0E53BD2E
	s_waitcnt vmcnt(36)                                        // 000000003CF8: BF8C8F74
	v_mfma_i32_16x16x32_i8 v[152:155], a[48:49], v[192:193], v[152:155]// 000000003CFC: D3D70098 0E638130
	v_mfma_i32_16x16x32_i8 v[152:155], a[50:51], v[194:195], v[152:155]// 000000003D04: D3D70098 0E638532
	buffer_load_dwordx4 a[176:179], v37, s[92:95], 0 offen     // 000000003D0C: E05C1000 8097B025
	v_mfma_i32_16x16x32_i8 v[152:155], a[52:53], v[196:197], v[152:155]// 000000003D14: D3D70098 0E638934
	v_mfma_i32_16x16x32_i8 v[152:155], a[54:55], v[198:199], v[152:155]// 000000003D1C: D3D70098 0E638D36
	v_mfma_i32_16x16x32_i8 v[152:155], a[56:57], v[200:201], v[152:155]// 000000003D24: D3D70098 0E639138
	v_mfma_i32_16x16x32_i8 v[152:155], a[58:59], v[202:203], v[152:155]// 000000003D2C: D3D70098 0E63953A
	buffer_load_dwordx4 a[180:183], v37, s[92:95], 0 offen offset:1024// 000000003D34: E05C1400 8097B425
	v_mfma_i32_16x16x32_i8 v[152:155], a[60:61], v[204:205], v[152:155]// 000000003D3C: D3D70098 0E63993C
	v_mfma_i32_16x16x32_i8 v[152:155], a[62:63], v[206:207], v[152:155]// 000000003D44: D3D70098 0E639D3E
	v_mfma_i32_16x16x32_i8 v[156:159], a[48:49], v[208:209], v[156:159]// 000000003D4C: D3D7009C 0E73A130
	v_mfma_i32_16x16x32_i8 v[156:159], a[50:51], v[210:211], v[156:159]// 000000003D54: D3D7009C 0E73A532
	buffer_load_dwordx4 a[184:187], v37, s[92:95], 0 offen offset:2048// 000000003D5C: E05C1800 8097B825
	v_mfma_i32_16x16x32_i8 v[156:159], a[52:53], v[212:213], v[156:159]// 000000003D64: D3D7009C 0E73A934
	v_mfma_i32_16x16x32_i8 v[156:159], a[54:55], v[214:215], v[156:159]// 000000003D6C: D3D7009C 0E73AD36
	v_mfma_i32_16x16x32_i8 v[156:159], a[56:57], v[216:217], v[156:159]// 000000003D74: D3D7009C 0E73B138
	v_mfma_i32_16x16x32_i8 v[156:159], a[58:59], v[218:219], v[156:159]// 000000003D7C: D3D7009C 0E73B53A
	buffer_load_dwordx4 a[188:191], v37, s[92:95], 0 offen offset:3072// 000000003D84: E05C1C00 8097BC25
	v_mfma_i32_16x16x32_i8 v[156:159], a[60:61], v[220:221], v[156:159]// 000000003D8C: D3D7009C 0E73B93C
	v_mfma_i32_16x16x32_i8 v[156:159], a[62:63], v[222:223], v[156:159]// 000000003D94: D3D7009C 0E73BD3E
	s_waitcnt vmcnt(36)                                        // 000000003D9C: BF8C8F74
	v_mfma_i32_16x16x32_i8 v[160:163], a[64:65], v[192:193], v[160:163]// 000000003DA0: D3D700A0 0E838140
	v_mfma_i32_16x16x32_i8 v[160:163], a[66:67], v[194:195], v[160:163]// 000000003DA8: D3D700A0 0E838542
	buffer_load_dwordx4 a[192:195], v38, s[92:95], 0 offen     // 000000003DB0: E05C1000 8097C026
	v_mfma_i32_16x16x32_i8 v[160:163], a[68:69], v[196:197], v[160:163]// 000000003DB8: D3D700A0 0E838944
	v_mfma_i32_16x16x32_i8 v[160:163], a[70:71], v[198:199], v[160:163]// 000000003DC0: D3D700A0 0E838D46
	v_mfma_i32_16x16x32_i8 v[160:163], a[72:73], v[200:201], v[160:163]// 000000003DC8: D3D700A0 0E839148
	v_mfma_i32_16x16x32_i8 v[160:163], a[74:75], v[202:203], v[160:163]// 000000003DD0: D3D700A0 0E83954A
	buffer_load_dwordx4 a[196:199], v38, s[92:95], 0 offen offset:1024// 000000003DD8: E05C1400 8097C426
	v_mfma_i32_16x16x32_i8 v[160:163], a[76:77], v[204:205], v[160:163]// 000000003DE0: D3D700A0 0E83994C
	v_mfma_i32_16x16x32_i8 v[160:163], a[78:79], v[206:207], v[160:163]// 000000003DE8: D3D700A0 0E839D4E
	v_mfma_i32_16x16x32_i8 v[164:167], a[64:65], v[208:209], v[164:167]// 000000003DF0: D3D700A4 0E93A140
	v_mfma_i32_16x16x32_i8 v[164:167], a[66:67], v[210:211], v[164:167]// 000000003DF8: D3D700A4 0E93A542
	buffer_load_dwordx4 a[200:203], v38, s[92:95], 0 offen offset:2048// 000000003E00: E05C1800 8097C826
	v_mfma_i32_16x16x32_i8 v[164:167], a[68:69], v[212:213], v[164:167]// 000000003E08: D3D700A4 0E93A944
	v_mfma_i32_16x16x32_i8 v[164:167], a[70:71], v[214:215], v[164:167]// 000000003E10: D3D700A4 0E93AD46
	v_mfma_i32_16x16x32_i8 v[164:167], a[72:73], v[216:217], v[164:167]// 000000003E18: D3D700A4 0E93B148
	v_mfma_i32_16x16x32_i8 v[164:167], a[74:75], v[218:219], v[164:167]// 000000003E20: D3D700A4 0E93B54A
	buffer_load_dwordx4 a[204:207], v38, s[92:95], 0 offen offset:3072// 000000003E28: E05C1C00 8097CC26
	v_mfma_i32_16x16x32_i8 v[164:167], a[76:77], v[220:221], v[164:167]// 000000003E30: D3D700A4 0E93B94C
	v_mfma_i32_16x16x32_i8 v[164:167], a[78:79], v[222:223], v[164:167]// 000000003E38: D3D700A4 0E93BD4E
	s_waitcnt vmcnt(36)                                        // 000000003E40: BF8C8F74
	v_mfma_i32_16x16x32_i8 v[168:171], a[80:81], v[192:193], v[168:171]// 000000003E44: D3D700A8 0EA38150
	v_mfma_i32_16x16x32_i8 v[168:171], a[82:83], v[194:195], v[168:171]// 000000003E4C: D3D700A8 0EA38552
	buffer_load_dwordx4 a[208:211], v39, s[92:95], 0 offen     // 000000003E54: E05C1000 8097D027
	v_mfma_i32_16x16x32_i8 v[168:171], a[84:85], v[196:197], v[168:171]// 000000003E5C: D3D700A8 0EA38954
	v_mfma_i32_16x16x32_i8 v[168:171], a[86:87], v[198:199], v[168:171]// 000000003E64: D3D700A8 0EA38D56
	v_mfma_i32_16x16x32_i8 v[168:171], a[88:89], v[200:201], v[168:171]// 000000003E6C: D3D700A8 0EA39158
	v_mfma_i32_16x16x32_i8 v[168:171], a[90:91], v[202:203], v[168:171]// 000000003E74: D3D700A8 0EA3955A
	buffer_load_dwordx4 a[212:215], v39, s[92:95], 0 offen offset:1024// 000000003E7C: E05C1400 8097D427
	v_mfma_i32_16x16x32_i8 v[168:171], a[92:93], v[204:205], v[168:171]// 000000003E84: D3D700A8 0EA3995C
	v_mfma_i32_16x16x32_i8 v[168:171], a[94:95], v[206:207], v[168:171]// 000000003E8C: D3D700A8 0EA39D5E
	v_mfma_i32_16x16x32_i8 v[172:175], a[80:81], v[208:209], v[172:175]// 000000003E94: D3D700AC 0EB3A150
	v_mfma_i32_16x16x32_i8 v[172:175], a[82:83], v[210:211], v[172:175]// 000000003E9C: D3D700AC 0EB3A552
	buffer_load_dwordx4 a[216:219], v39, s[92:95], 0 offen offset:2048// 000000003EA4: E05C1800 8097D827
	v_mfma_i32_16x16x32_i8 v[172:175], a[84:85], v[212:213], v[172:175]// 000000003EAC: D3D700AC 0EB3A954
	v_mfma_i32_16x16x32_i8 v[172:175], a[86:87], v[214:215], v[172:175]// 000000003EB4: D3D700AC 0EB3AD56
	v_mfma_i32_16x16x32_i8 v[172:175], a[88:89], v[216:217], v[172:175]// 000000003EBC: D3D700AC 0EB3B158
	v_mfma_i32_16x16x32_i8 v[172:175], a[90:91], v[218:219], v[172:175]// 000000003EC4: D3D700AC 0EB3B55A
	buffer_load_dwordx4 a[220:223], v39, s[92:95], 0 offen offset:3072// 000000003ECC: E05C1C00 8097DC27
	v_mfma_i32_16x16x32_i8 v[172:175], a[92:93], v[220:221], v[172:175]// 000000003ED4: D3D700AC 0EB3B95C
	v_mfma_i32_16x16x32_i8 v[172:175], a[94:95], v[222:223], v[172:175]// 000000003EDC: D3D700AC 0EB3BD5E
	s_waitcnt vmcnt(36)                                        // 000000003EE4: BF8C8F74
	v_mfma_i32_16x16x32_i8 v[176:179], a[96:97], v[192:193], v[176:179]// 000000003EE8: D3D700B0 0EC38160
	v_mfma_i32_16x16x32_i8 v[176:179], a[98:99], v[194:195], v[176:179]// 000000003EF0: D3D700B0 0EC38562
	buffer_load_dwordx4 a[224:227], v40, s[92:95], 0 offen     // 000000003EF8: E05C1000 8097E028
	v_mfma_i32_16x16x32_i8 v[176:179], a[100:101], v[196:197], v[176:179]// 000000003F00: D3D700B0 0EC38964
	v_mfma_i32_16x16x32_i8 v[176:179], a[102:103], v[198:199], v[176:179]// 000000003F08: D3D700B0 0EC38D66
	v_mfma_i32_16x16x32_i8 v[176:179], a[104:105], v[200:201], v[176:179]// 000000003F10: D3D700B0 0EC39168
	v_mfma_i32_16x16x32_i8 v[176:179], a[106:107], v[202:203], v[176:179]// 000000003F18: D3D700B0 0EC3956A
	buffer_load_dwordx4 a[228:231], v40, s[92:95], 0 offen offset:1024// 000000003F20: E05C1400 8097E428
	v_mfma_i32_16x16x32_i8 v[176:179], a[108:109], v[204:205], v[176:179]// 000000003F28: D3D700B0 0EC3996C
	v_mfma_i32_16x16x32_i8 v[176:179], a[110:111], v[206:207], v[176:179]// 000000003F30: D3D700B0 0EC39D6E
	v_mfma_i32_16x16x32_i8 v[180:183], a[96:97], v[208:209], v[180:183]// 000000003F38: D3D700B4 0ED3A160
	v_mfma_i32_16x16x32_i8 v[180:183], a[98:99], v[210:211], v[180:183]// 000000003F40: D3D700B4 0ED3A562
	buffer_load_dwordx4 a[232:235], v40, s[92:95], 0 offen offset:2048// 000000003F48: E05C1800 8097E828
	v_mfma_i32_16x16x32_i8 v[180:183], a[100:101], v[212:213], v[180:183]// 000000003F50: D3D700B4 0ED3A964
	v_mfma_i32_16x16x32_i8 v[180:183], a[102:103], v[214:215], v[180:183]// 000000003F58: D3D700B4 0ED3AD66
	v_mfma_i32_16x16x32_i8 v[180:183], a[104:105], v[216:217], v[180:183]// 000000003F60: D3D700B4 0ED3B168
	v_mfma_i32_16x16x32_i8 v[180:183], a[106:107], v[218:219], v[180:183]// 000000003F68: D3D700B4 0ED3B56A
	buffer_load_dwordx4 a[236:239], v40, s[92:95], 0 offen offset:3072// 000000003F70: E05C1C00 8097EC28
	v_mfma_i32_16x16x32_i8 v[180:183], a[108:109], v[220:221], v[180:183]// 000000003F78: D3D700B4 0ED3B96C
	v_mfma_i32_16x16x32_i8 v[180:183], a[110:111], v[222:223], v[180:183]// 000000003F80: D3D700B4 0ED3BD6E
	s_waitcnt vmcnt(36)                                        // 000000003F88: BF8C8F74
	v_mfma_i32_16x16x32_i8 v[184:187], a[112:113], v[192:193], v[184:187]// 000000003F8C: D3D700B8 0EE38170
	v_mfma_i32_16x16x32_i8 v[184:187], a[114:115], v[194:195], v[184:187]// 000000003F94: D3D700B8 0EE38572
	buffer_load_dwordx4 a[240:243], v41, s[92:95], 0 offen     // 000000003F9C: E05C1000 8097F029
	v_mfma_i32_16x16x32_i8 v[184:187], a[116:117], v[196:197], v[184:187]// 000000003FA4: D3D700B8 0EE38974
	v_mfma_i32_16x16x32_i8 v[184:187], a[118:119], v[198:199], v[184:187]// 000000003FAC: D3D700B8 0EE38D76
	v_mfma_i32_16x16x32_i8 v[184:187], a[120:121], v[200:201], v[184:187]// 000000003FB4: D3D700B8 0EE39178
	v_mfma_i32_16x16x32_i8 v[184:187], a[122:123], v[202:203], v[184:187]// 000000003FBC: D3D700B8 0EE3957A
	buffer_load_dwordx4 a[244:247], v41, s[92:95], 0 offen offset:1024// 000000003FC4: E05C1400 8097F429
	v_mfma_i32_16x16x32_i8 v[184:187], a[124:125], v[204:205], v[184:187]// 000000003FCC: D3D700B8 0EE3997C
	v_mfma_i32_16x16x32_i8 v[184:187], a[126:127], v[206:207], v[184:187]// 000000003FD4: D3D700B8 0EE39D7E
	v_mfma_i32_16x16x32_i8 v[188:191], a[112:113], v[208:209], v[188:191]// 000000003FDC: D3D700BC 0EF3A170
	v_mfma_i32_16x16x32_i8 v[188:191], a[114:115], v[210:211], v[188:191]// 000000003FE4: D3D700BC 0EF3A572
	buffer_load_dwordx4 a[248:251], v41, s[92:95], 0 offen offset:2048// 000000003FEC: E05C1800 8097F829
	v_mfma_i32_16x16x32_i8 v[188:191], a[116:117], v[212:213], v[188:191]// 000000003FF4: D3D700BC 0EF3A974
	v_mfma_i32_16x16x32_i8 v[188:191], a[118:119], v[214:215], v[188:191]// 000000003FFC: D3D700BC 0EF3AD76
	v_mfma_i32_16x16x32_i8 v[188:191], a[120:121], v[216:217], v[188:191]// 000000004004: D3D700BC 0EF3B178
	v_mfma_i32_16x16x32_i8 v[188:191], a[122:123], v[218:219], v[188:191]// 00000000400C: D3D700BC 0EF3B57A
	buffer_load_dwordx4 a[252:255], v41, s[92:95], 0 offen offset:3072// 000000004014: E05C1C00 8097FC29
	v_mfma_i32_16x16x32_i8 v[188:191], a[124:125], v[220:221], v[188:191]// 00000000401C: D3D700BC 0EF3B97C
	v_mfma_i32_16x16x32_i8 v[188:191], a[126:127], v[222:223], v[188:191]// 000000004024: D3D700BC 0EF3BD7E
	s_waitcnt vmcnt(24)                                        // 00000000402C: BF8C4F78
	s_barrier                                                  // 000000004030: BF8A0000
	v_mfma_i32_16x16x32_i8 v[64:67], a[128:129], v[192:193], v[64:67]// 000000004034: D3D70040 0D038180
	v_mfma_i32_16x16x32_i8 v[64:67], a[130:131], v[194:195], v[64:67]// 00000000403C: D3D70040 0D038582
	buffer_load_dwordx4 a[0:3], v34, s[24:27], 0 offen         // 000000004044: E05C1000 80860022
	v_mfma_i32_16x16x32_i8 v[64:67], a[132:133], v[196:197], v[64:67]// 00000000404C: D3D70040 0D038984
	v_mfma_i32_16x16x32_i8 v[64:67], a[134:135], v[198:199], v[64:67]// 000000004054: D3D70040 0D038D86
	v_mfma_i32_16x16x32_i8 v[64:67], a[136:137], v[200:201], v[64:67]// 00000000405C: D3D70040 0D039188
	v_mfma_i32_16x16x32_i8 v[64:67], a[138:139], v[202:203], v[64:67]// 000000004064: D3D70040 0D03958A
	buffer_load_dwordx4 a[4:7], v34, s[24:27], 0 offen offset:1024// 00000000406C: E05C1400 80860422
	v_mfma_i32_16x16x32_i8 v[64:67], a[140:141], v[204:205], v[64:67]// 000000004074: D3D70040 0D03998C
	v_mfma_i32_16x16x32_i8 v[64:67], a[142:143], v[206:207], v[64:67]// 00000000407C: D3D70040 0D039D8E
	v_mfma_i32_16x16x32_i8 v[68:71], a[128:129], v[208:209], v[68:71]// 000000004084: D3D70044 0D13A180
	v_mfma_i32_16x16x32_i8 v[68:71], a[130:131], v[210:211], v[68:71]// 00000000408C: D3D70044 0D13A582
	buffer_load_dwordx4 a[8:11], v34, s[24:27], 0 offen offset:2048// 000000004094: E05C1800 80860822
	v_mfma_i32_16x16x32_i8 v[68:71], a[132:133], v[212:213], v[68:71]// 00000000409C: D3D70044 0D13A984
	v_mfma_i32_16x16x32_i8 v[68:71], a[134:135], v[214:215], v[68:71]// 0000000040A4: D3D70044 0D13AD86
	v_mfma_i32_16x16x32_i8 v[68:71], a[136:137], v[216:217], v[68:71]// 0000000040AC: D3D70044 0D13B188
	v_mfma_i32_16x16x32_i8 v[68:71], a[138:139], v[218:219], v[68:71]// 0000000040B4: D3D70044 0D13B58A
	buffer_load_dwordx4 a[12:15], v34, s[24:27], 0 offen offset:3072// 0000000040BC: E05C1C00 80860C22
	v_mfma_i32_16x16x32_i8 v[68:71], a[140:141], v[220:221], v[68:71]// 0000000040C4: D3D70044 0D13B98C
	v_mfma_i32_16x16x32_i8 v[68:71], a[142:143], v[222:223], v[68:71]// 0000000040CC: D3D70044 0D13BD8E
	v_mfma_i32_16x16x32_i8 v[72:75], a[144:145], v[192:193], v[72:75]// 0000000040D4: D3D70048 0D238190
	v_mfma_i32_16x16x32_i8 v[72:75], a[146:147], v[194:195], v[72:75]// 0000000040DC: D3D70048 0D238592
	buffer_load_dwordx4 a[16:19], v35, s[24:27], 0 offen       // 0000000040E4: E05C1000 80861023
	v_mfma_i32_16x16x32_i8 v[72:75], a[148:149], v[196:197], v[72:75]// 0000000040EC: D3D70048 0D238994
	v_mfma_i32_16x16x32_i8 v[72:75], a[150:151], v[198:199], v[72:75]// 0000000040F4: D3D70048 0D238D96
	v_mfma_i32_16x16x32_i8 v[72:75], a[152:153], v[200:201], v[72:75]// 0000000040FC: D3D70048 0D239198
	v_mfma_i32_16x16x32_i8 v[72:75], a[154:155], v[202:203], v[72:75]// 000000004104: D3D70048 0D23959A
	buffer_load_dwordx4 a[20:23], v35, s[24:27], 0 offen offset:1024// 00000000410C: E05C1400 80861423
	v_mfma_i32_16x16x32_i8 v[72:75], a[156:157], v[204:205], v[72:75]// 000000004114: D3D70048 0D23999C
	v_mfma_i32_16x16x32_i8 v[72:75], a[158:159], v[206:207], v[72:75]// 00000000411C: D3D70048 0D239D9E
	v_mfma_i32_16x16x32_i8 v[76:79], a[144:145], v[208:209], v[76:79]// 000000004124: D3D7004C 0D33A190
	v_mfma_i32_16x16x32_i8 v[76:79], a[146:147], v[210:211], v[76:79]// 00000000412C: D3D7004C 0D33A592
	buffer_load_dwordx4 a[24:27], v35, s[24:27], 0 offen offset:2048// 000000004134: E05C1800 80861823
	v_mfma_i32_16x16x32_i8 v[76:79], a[148:149], v[212:213], v[76:79]// 00000000413C: D3D7004C 0D33A994
	v_mfma_i32_16x16x32_i8 v[76:79], a[150:151], v[214:215], v[76:79]// 000000004144: D3D7004C 0D33AD96
	v_mfma_i32_16x16x32_i8 v[76:79], a[152:153], v[216:217], v[76:79]// 00000000414C: D3D7004C 0D33B198
	v_mfma_i32_16x16x32_i8 v[76:79], a[154:155], v[218:219], v[76:79]// 000000004154: D3D7004C 0D33B59A
	buffer_load_dwordx4 a[28:31], v35, s[24:27], 0 offen offset:3072// 00000000415C: E05C1C00 80861C23
	v_mfma_i32_16x16x32_i8 v[76:79], a[156:157], v[220:221], v[76:79]// 000000004164: D3D7004C 0D33B99C
	v_mfma_i32_16x16x32_i8 v[76:79], a[158:159], v[222:223], v[76:79]// 00000000416C: D3D7004C 0D33BD9E
	s_waitcnt vmcnt(28)                                        // 000000004174: BF8C4F7C
	v_mfma_i32_16x16x32_i8 v[80:83], a[160:161], v[192:193], v[80:83]// 000000004178: D3D70050 0D4381A0
	v_mfma_i32_16x16x32_i8 v[80:83], a[162:163], v[194:195], v[80:83]// 000000004180: D3D70050 0D4385A2
	buffer_load_dwordx4 a[32:35], v36, s[24:27], 0 offen       // 000000004188: E05C1000 80862024
	v_mfma_i32_16x16x32_i8 v[80:83], a[164:165], v[196:197], v[80:83]// 000000004190: D3D70050 0D4389A4
	v_mfma_i32_16x16x32_i8 v[80:83], a[166:167], v[198:199], v[80:83]// 000000004198: D3D70050 0D438DA6
	ds_read_b128 v[224:227], v2 offset:8320                    // 0000000041A0: D9FE2080 E0000002
	v_mfma_i32_16x16x32_i8 v[80:83], a[168:169], v[200:201], v[80:83]// 0000000041A8: D3D70050 0D4391A8
	v_mfma_i32_16x16x32_i8 v[80:83], a[170:171], v[202:203], v[80:83]// 0000000041B0: D3D70050 0D4395AA
	buffer_load_dwordx4 a[36:39], v36, s[24:27], 0 offen offset:1024// 0000000041B8: E05C1400 80862424
	v_mfma_i32_16x16x32_i8 v[80:83], a[172:173], v[204:205], v[80:83]// 0000000041C0: D3D70050 0D4399AC
	v_mfma_i32_16x16x32_i8 v[80:83], a[174:175], v[206:207], v[80:83]// 0000000041C8: D3D70050 0D439DAE
	ds_read_b128 v[228:231], v2 offset:8384                    // 0000000041D0: D9FE20C0 E4000002
	v_mfma_i32_16x16x32_i8 v[84:87], a[160:161], v[208:209], v[84:87]// 0000000041D8: D3D70054 0D53A1A0
	v_mfma_i32_16x16x32_i8 v[84:87], a[162:163], v[210:211], v[84:87]// 0000000041E0: D3D70054 0D53A5A2
	buffer_load_dwordx4 a[40:43], v36, s[24:27], 0 offen offset:2048// 0000000041E8: E05C1800 80862824
	v_mfma_i32_16x16x32_i8 v[84:87], a[164:165], v[212:213], v[84:87]// 0000000041F0: D3D70054 0D53A9A4
	v_mfma_i32_16x16x32_i8 v[84:87], a[166:167], v[214:215], v[84:87]// 0000000041F8: D3D70054 0D53ADA6
	ds_read_b128 v[232:235], v2 offset:8448                    // 000000004200: D9FE2100 E8000002
	v_mfma_i32_16x16x32_i8 v[84:87], a[168:169], v[216:217], v[84:87]// 000000004208: D3D70054 0D53B1A8
	v_mfma_i32_16x16x32_i8 v[84:87], a[170:171], v[218:219], v[84:87]// 000000004210: D3D70054 0D53B5AA
	buffer_load_dwordx4 a[44:47], v36, s[24:27], 0 offen offset:3072// 000000004218: E05C1C00 80862C24
	v_mfma_i32_16x16x32_i8 v[84:87], a[172:173], v[220:221], v[84:87]// 000000004220: D3D70054 0D53B9AC
	v_mfma_i32_16x16x32_i8 v[84:87], a[174:175], v[222:223], v[84:87]// 000000004228: D3D70054 0D53BDAE
	ds_read_b128 v[236:239], v2 offset:8512                    // 000000004230: D9FE2140 EC000002
	s_waitcnt vmcnt(28)                                        // 000000004238: BF8C4F7C
	v_mfma_i32_16x16x32_i8 v[88:91], a[176:177], v[192:193], v[88:91]// 00000000423C: D3D70058 0D6381B0
	v_mfma_i32_16x16x32_i8 v[88:91], a[178:179], v[194:195], v[88:91]// 000000004244: D3D70058 0D6385B2
	buffer_load_dwordx4 a[48:51], v37, s[24:27], 0 offen       // 00000000424C: E05C1000 80863025
	v_mfma_i32_16x16x32_i8 v[88:91], a[180:181], v[196:197], v[88:91]// 000000004254: D3D70058 0D6389B4
	v_mfma_i32_16x16x32_i8 v[88:91], a[182:183], v[198:199], v[88:91]// 00000000425C: D3D70058 0D638DB6
	ds_read_b128 v[240:243], v2 offset:9344                    // 000000004264: D9FE2480 F0000002
	v_mfma_i32_16x16x32_i8 v[88:91], a[184:185], v[200:201], v[88:91]// 00000000426C: D3D70058 0D6391B8
	v_mfma_i32_16x16x32_i8 v[88:91], a[186:187], v[202:203], v[88:91]// 000000004274: D3D70058 0D6395BA
	buffer_load_dwordx4 a[52:55], v37, s[24:27], 0 offen offset:1024// 00000000427C: E05C1400 80863425
	v_mfma_i32_16x16x32_i8 v[88:91], a[188:189], v[204:205], v[88:91]// 000000004284: D3D70058 0D6399BC
	v_mfma_i32_16x16x32_i8 v[88:91], a[190:191], v[206:207], v[88:91]// 00000000428C: D3D70058 0D639DBE
	ds_read_b128 v[244:247], v2 offset:9408                    // 000000004294: D9FE24C0 F4000002
	v_mfma_i32_16x16x32_i8 v[92:95], a[176:177], v[208:209], v[92:95]// 00000000429C: D3D7005C 0D73A1B0
	v_mfma_i32_16x16x32_i8 v[92:95], a[178:179], v[210:211], v[92:95]// 0000000042A4: D3D7005C 0D73A5B2
	buffer_load_dwordx4 a[56:59], v37, s[24:27], 0 offen offset:2048// 0000000042AC: E05C1800 80863825
	v_mfma_i32_16x16x32_i8 v[92:95], a[180:181], v[212:213], v[92:95]// 0000000042B4: D3D7005C 0D73A9B4
	v_mfma_i32_16x16x32_i8 v[92:95], a[182:183], v[214:215], v[92:95]// 0000000042BC: D3D7005C 0D73ADB6
	ds_read_b128 v[248:251], v2 offset:9472                    // 0000000042C4: D9FE2500 F8000002
	v_mfma_i32_16x16x32_i8 v[92:95], a[184:185], v[216:217], v[92:95]// 0000000042CC: D3D7005C 0D73B1B8
	v_mfma_i32_16x16x32_i8 v[92:95], a[186:187], v[218:219], v[92:95]// 0000000042D4: D3D7005C 0D73B5BA
	buffer_load_dwordx4 a[60:63], v37, s[24:27], 0 offen offset:3072// 0000000042DC: E05C1C00 80863C25
	v_mfma_i32_16x16x32_i8 v[92:95], a[188:189], v[220:221], v[92:95]// 0000000042E4: D3D7005C 0D73B9BC
	v_mfma_i32_16x16x32_i8 v[92:95], a[190:191], v[222:223], v[92:95]// 0000000042EC: D3D7005C 0D73BDBE
	ds_read_b128 v[252:255], v2 offset:9536                    // 0000000042F4: D9FE2540 FC000002
	s_waitcnt vmcnt(28)                                        // 0000000042FC: BF8C4F7C
	v_mfma_i32_16x16x32_i8 v[96:99], a[192:193], v[192:193], v[96:99]// 000000004300: D3D70060 0D8381C0
	v_mfma_i32_16x16x32_i8 v[96:99], a[194:195], v[194:195], v[96:99]// 000000004308: D3D70060 0D8385C2
	buffer_load_dwordx4 a[64:67], v38, s[24:27], 0 offen       // 000000004310: E05C1000 80864026
	v_mfma_i32_16x16x32_i8 v[96:99], a[196:197], v[196:197], v[96:99]// 000000004318: D3D70060 0D8389C4
	v_mfma_i32_16x16x32_i8 v[96:99], a[198:199], v[198:199], v[96:99]// 000000004320: D3D70060 0D838DC6
	v_mfma_i32_16x16x32_i8 v[96:99], a[200:201], v[200:201], v[96:99]// 000000004328: D3D70060 0D8391C8
	v_mfma_i32_16x16x32_i8 v[96:99], a[202:203], v[202:203], v[96:99]// 000000004330: D3D70060 0D8395CA
	buffer_load_dwordx4 a[68:71], v38, s[24:27], 0 offen offset:1024// 000000004338: E05C1400 80864426
	v_mfma_i32_16x16x32_i8 v[96:99], a[204:205], v[204:205], v[96:99]// 000000004340: D3D70060 0D8399CC
	v_mfma_i32_16x16x32_i8 v[96:99], a[206:207], v[206:207], v[96:99]// 000000004348: D3D70060 0D839DCE
	v_mfma_i32_16x16x32_i8 v[100:103], a[192:193], v[208:209], v[100:103]// 000000004350: D3D70064 0D93A1C0
	v_mfma_i32_16x16x32_i8 v[100:103], a[194:195], v[210:211], v[100:103]// 000000004358: D3D70064 0D93A5C2
	buffer_load_dwordx4 a[72:75], v38, s[24:27], 0 offen offset:2048// 000000004360: E05C1800 80864826
	v_mfma_i32_16x16x32_i8 v[100:103], a[196:197], v[212:213], v[100:103]// 000000004368: D3D70064 0D93A9C4
	v_mfma_i32_16x16x32_i8 v[100:103], a[198:199], v[214:215], v[100:103]// 000000004370: D3D70064 0D93ADC6
	v_mfma_i32_16x16x32_i8 v[100:103], a[200:201], v[216:217], v[100:103]// 000000004378: D3D70064 0D93B1C8
	v_mfma_i32_16x16x32_i8 v[100:103], a[202:203], v[218:219], v[100:103]// 000000004380: D3D70064 0D93B5CA
	buffer_load_dwordx4 a[76:79], v38, s[24:27], 0 offen offset:3072// 000000004388: E05C1C00 80864C26
	v_mfma_i32_16x16x32_i8 v[100:103], a[204:205], v[220:221], v[100:103]// 000000004390: D3D70064 0D93B9CC
	v_mfma_i32_16x16x32_i8 v[100:103], a[206:207], v[222:223], v[100:103]// 000000004398: D3D70064 0D93BDCE
	s_waitcnt vmcnt(28)                                        // 0000000043A0: BF8C4F7C
	v_mfma_i32_16x16x32_i8 v[104:107], a[208:209], v[192:193], v[104:107]// 0000000043A4: D3D70068 0DA381D0
	v_mfma_i32_16x16x32_i8 v[104:107], a[210:211], v[194:195], v[104:107]// 0000000043AC: D3D70068 0DA385D2
	buffer_load_dwordx4 a[80:83], v39, s[24:27], 0 offen       // 0000000043B4: E05C1000 80865027
	v_mfma_i32_16x16x32_i8 v[104:107], a[212:213], v[196:197], v[104:107]// 0000000043BC: D3D70068 0DA389D4
	v_mfma_i32_16x16x32_i8 v[104:107], a[214:215], v[198:199], v[104:107]// 0000000043C4: D3D70068 0DA38DD6
	v_mfma_i32_16x16x32_i8 v[104:107], a[216:217], v[200:201], v[104:107]// 0000000043CC: D3D70068 0DA391D8
	v_mfma_i32_16x16x32_i8 v[104:107], a[218:219], v[202:203], v[104:107]// 0000000043D4: D3D70068 0DA395DA
	buffer_load_dwordx4 a[84:87], v39, s[24:27], 0 offen offset:1024// 0000000043DC: E05C1400 80865427
	v_mfma_i32_16x16x32_i8 v[104:107], a[220:221], v[204:205], v[104:107]// 0000000043E4: D3D70068 0DA399DC
	v_mfma_i32_16x16x32_i8 v[104:107], a[222:223], v[206:207], v[104:107]// 0000000043EC: D3D70068 0DA39DDE
	v_mfma_i32_16x16x32_i8 v[108:111], a[208:209], v[208:209], v[108:111]// 0000000043F4: D3D7006C 0DB3A1D0
	v_mfma_i32_16x16x32_i8 v[108:111], a[210:211], v[210:211], v[108:111]// 0000000043FC: D3D7006C 0DB3A5D2
	buffer_load_dwordx4 a[88:91], v39, s[24:27], 0 offen offset:2048// 000000004404: E05C1800 80865827
	v_mfma_i32_16x16x32_i8 v[108:111], a[212:213], v[212:213], v[108:111]// 00000000440C: D3D7006C 0DB3A9D4
	v_mfma_i32_16x16x32_i8 v[108:111], a[214:215], v[214:215], v[108:111]// 000000004414: D3D7006C 0DB3ADD6
	v_mfma_i32_16x16x32_i8 v[108:111], a[216:217], v[216:217], v[108:111]// 00000000441C: D3D7006C 0DB3B1D8
	v_mfma_i32_16x16x32_i8 v[108:111], a[218:219], v[218:219], v[108:111]// 000000004424: D3D7006C 0DB3B5DA
	buffer_load_dwordx4 a[92:95], v39, s[24:27], 0 offen offset:3072// 00000000442C: E05C1C00 80865C27
	v_mfma_i32_16x16x32_i8 v[108:111], a[220:221], v[220:221], v[108:111]// 000000004434: D3D7006C 0DB3B9DC
	v_mfma_i32_16x16x32_i8 v[108:111], a[222:223], v[222:223], v[108:111]// 00000000443C: D3D7006C 0DB3BDDE
	s_waitcnt vmcnt(28)                                        // 000000004444: BF8C4F7C
	v_mfma_i32_16x16x32_i8 v[112:115], a[224:225], v[192:193], v[112:115]// 000000004448: D3D70070 0DC381E0
	v_mfma_i32_16x16x32_i8 v[112:115], a[226:227], v[194:195], v[112:115]// 000000004450: D3D70070 0DC385E2
	buffer_load_dwordx4 a[96:99], v40, s[24:27], 0 offen       // 000000004458: E05C1000 80866028
	v_mfma_i32_16x16x32_i8 v[112:115], a[228:229], v[196:197], v[112:115]// 000000004460: D3D70070 0DC389E4
	v_mfma_i32_16x16x32_i8 v[112:115], a[230:231], v[198:199], v[112:115]// 000000004468: D3D70070 0DC38DE6
	v_mfma_i32_16x16x32_i8 v[112:115], a[232:233], v[200:201], v[112:115]// 000000004470: D3D70070 0DC391E8
	v_mfma_i32_16x16x32_i8 v[112:115], a[234:235], v[202:203], v[112:115]// 000000004478: D3D70070 0DC395EA
	buffer_load_dwordx4 a[100:103], v40, s[24:27], 0 offen offset:1024// 000000004480: E05C1400 80866428
	v_mfma_i32_16x16x32_i8 v[112:115], a[236:237], v[204:205], v[112:115]// 000000004488: D3D70070 0DC399EC
	v_mfma_i32_16x16x32_i8 v[112:115], a[238:239], v[206:207], v[112:115]// 000000004490: D3D70070 0DC39DEE
	v_mfma_i32_16x16x32_i8 v[116:119], a[224:225], v[208:209], v[116:119]// 000000004498: D3D70074 0DD3A1E0
	v_mfma_i32_16x16x32_i8 v[116:119], a[226:227], v[210:211], v[116:119]// 0000000044A0: D3D70074 0DD3A5E2
	buffer_load_dwordx4 a[104:107], v40, s[24:27], 0 offen offset:2048// 0000000044A8: E05C1800 80866828
	v_mfma_i32_16x16x32_i8 v[116:119], a[228:229], v[212:213], v[116:119]// 0000000044B0: D3D70074 0DD3A9E4
	v_mfma_i32_16x16x32_i8 v[116:119], a[230:231], v[214:215], v[116:119]// 0000000044B8: D3D70074 0DD3ADE6
	v_mfma_i32_16x16x32_i8 v[116:119], a[232:233], v[216:217], v[116:119]// 0000000044C0: D3D70074 0DD3B1E8
	v_mfma_i32_16x16x32_i8 v[116:119], a[234:235], v[218:219], v[116:119]// 0000000044C8: D3D70074 0DD3B5EA
	buffer_load_dwordx4 a[108:111], v40, s[24:27], 0 offen offset:3072// 0000000044D0: E05C1C00 80866C28
	v_mfma_i32_16x16x32_i8 v[116:119], a[236:237], v[220:221], v[116:119]// 0000000044D8: D3D70074 0DD3B9EC
	v_mfma_i32_16x16x32_i8 v[116:119], a[238:239], v[222:223], v[116:119]// 0000000044E0: D3D70074 0DD3BDEE
	s_waitcnt vmcnt(28)                                        // 0000000044E8: BF8C4F7C
	v_mfma_i32_16x16x32_i8 v[120:123], a[240:241], v[192:193], v[120:123]// 0000000044EC: D3D70078 0DE381F0
	v_mfma_i32_16x16x32_i8 v[120:123], a[242:243], v[194:195], v[120:123]// 0000000044F4: D3D70078 0DE385F2
	buffer_load_dwordx4 a[112:115], v41, s[24:27], 0 offen     // 0000000044FC: E05C1000 80867029
	v_mfma_i32_16x16x32_i8 v[120:123], a[244:245], v[196:197], v[120:123]// 000000004504: D3D70078 0DE389F4
	v_mfma_i32_16x16x32_i8 v[120:123], a[246:247], v[198:199], v[120:123]// 00000000450C: D3D70078 0DE38DF6
	v_mfma_i32_16x16x32_i8 v[120:123], a[248:249], v[200:201], v[120:123]// 000000004514: D3D70078 0DE391F8
	v_mfma_i32_16x16x32_i8 v[120:123], a[250:251], v[202:203], v[120:123]// 00000000451C: D3D70078 0DE395FA
	buffer_load_dwordx4 a[116:119], v41, s[24:27], 0 offen offset:1024// 000000004524: E05C1400 80867429
	v_mfma_i32_16x16x32_i8 v[120:123], a[252:253], v[204:205], v[120:123]// 00000000452C: D3D70078 0DE399FC
	v_mfma_i32_16x16x32_i8 v[120:123], a[254:255], v[206:207], v[120:123]// 000000004534: D3D70078 0DE39DFE
	v_mfma_i32_16x16x32_i8 v[124:127], a[240:241], v[208:209], v[124:127]// 00000000453C: D3D7007C 0DF3A1F0
	v_mfma_i32_16x16x32_i8 v[124:127], a[242:243], v[210:211], v[124:127]// 000000004544: D3D7007C 0DF3A5F2
	buffer_load_dwordx4 a[120:123], v41, s[24:27], 0 offen offset:2048// 00000000454C: E05C1800 80867829
	v_mfma_i32_16x16x32_i8 v[124:127], a[244:245], v[212:213], v[124:127]// 000000004554: D3D7007C 0DF3A9F4
	v_mfma_i32_16x16x32_i8 v[124:127], a[246:247], v[214:215], v[124:127]// 00000000455C: D3D7007C 0DF3ADF6
	v_mfma_i32_16x16x32_i8 v[124:127], a[248:249], v[216:217], v[124:127]// 000000004564: D3D7007C 0DF3B1F8
	v_mfma_i32_16x16x32_i8 v[124:127], a[250:251], v[218:219], v[124:127]// 00000000456C: D3D7007C 0DF3B5FA
	buffer_load_dwordx4 a[124:127], v41, s[24:27], 0 offen offset:3072// 000000004574: E05C1C00 80867C29
	v_mfma_i32_16x16x32_i8 v[124:127], a[252:253], v[220:221], v[124:127]// 00000000457C: D3D7007C 0DF3B9FC
	v_mfma_i32_16x16x32_i8 v[124:127], a[254:255], v[222:223], v[124:127]// 000000004584: D3D7007C 0DF3BDFE
	s_add_u32 s60, 0x200, s80                                  // 00000000458C: 803C50FF 00000200
	s_cmp_lt_u32 s60, s81                                      // 000000004594: BF0A513C
	s_cselect_b32 s57, s57, 0                                  // 000000004598: 85398039
	s_add_u32 s60, 0x200, s80                                  // 00000000459C: 803C50FF 00000200
	s_cmp_lt_u32 s60, s81                                      // 0000000045A4: BF0A513C
	s_cselect_b32 s58, s58, 0                                  // 0000000045A8: 853A803A
	s_add_u32 s20, s57, s20                                    // 0000000045AC: 80141439
	s_addc_u32 s21, 0, s21                                     // 0000000045B0: 82151580
	s_add_u32 s24, s58, s24                                    // 0000000045B4: 8018183A
	s_addc_u32 s25, 0, s25                                     // 0000000045B8: 82191980
	s_add_u32 s92, s90, s92                                    // 0000000045BC: 805C5C5A
	s_addc_u32 s93, 0, s93                                     // 0000000045C0: 825D5D80
	s_addk_i32 s80, 0x100                                      // 0000000045C4: B7500100
	s_cmp_lt_i32 s80, s81                                      // 0000000045C8: BF045150
	s_cbranch_scc0 label_08C5                                  // 0000000045CC: BF8402D1
	s_waitcnt vmcnt(24) lgkmcnt(0)                             // 0000000045D0: BF8C4078
	s_barrier                                                  // 0000000045D4: BF8A0000
	v_mfma_i32_16x16x32_i8 v[128:131], a[0:1], v[224:225], v[128:131]// 0000000045D8: D3D70080 0E03C100
	v_mfma_i32_16x16x32_i8 v[128:131], a[2:3], v[226:227], v[128:131]// 0000000045E0: D3D70080 0E03C502
	buffer_load_dwordx4 a[128:131], v34, s[92:95], 0 offen     // 0000000045E8: E05C1000 80978022
	v_mfma_i32_16x16x32_i8 v[128:131], a[4:5], v[228:229], v[128:131]// 0000000045F0: D3D70080 0E03C904
	v_mfma_i32_16x16x32_i8 v[128:131], a[6:7], v[230:231], v[128:131]// 0000000045F8: D3D70080 0E03CD06
	buffer_load_dword v26, s[20:23], 0 offen lds               // 000000004600: E0511000 8005001A
	s_add_u32 m0, 0x100, s50                                   // 000000004608: 807C32FF 00000100
	v_mfma_i32_16x16x32_i8 v[128:131], a[8:9], v[232:233], v[128:131]// 000000004610: D3D70080 0E03D108
	v_mfma_i32_16x16x32_i8 v[128:131], a[10:11], v[234:235], v[128:131]// 000000004618: D3D70080 0E03D50A
	buffer_load_dwordx4 a[132:135], v34, s[92:95], 0 offen offset:1024// 000000004620: E05C1400 80978422
	v_mfma_i32_16x16x32_i8 v[128:131], a[12:13], v[236:237], v[128:131]// 000000004628: D3D70080 0E03D90C
	v_mfma_i32_16x16x32_i8 v[128:131], a[14:15], v[238:239], v[128:131]// 000000004630: D3D70080 0E03DD0E
	buffer_load_dword v27, s[20:23], 0 offen lds               // 000000004638: E0511000 8005001B
	s_add_u32 m0, 0x200, s50                                   // 000000004640: 807C32FF 00000200
	v_mfma_i32_16x16x32_i8 v[132:135], a[0:1], v[240:241], v[132:135]// 000000004648: D3D70084 0E13E100
	v_mfma_i32_16x16x32_i8 v[132:135], a[2:3], v[242:243], v[132:135]// 000000004650: D3D70084 0E13E502
	buffer_load_dwordx4 a[136:139], v34, s[92:95], 0 offen offset:2048// 000000004658: E05C1800 80978822
	v_mfma_i32_16x16x32_i8 v[132:135], a[4:5], v[244:245], v[132:135]// 000000004660: D3D70084 0E13E904
	v_mfma_i32_16x16x32_i8 v[132:135], a[6:7], v[246:247], v[132:135]// 000000004668: D3D70084 0E13ED06
	buffer_load_dword v28, s[20:23], 0 offen lds               // 000000004670: E0511000 8005001C
	s_add_u32 m0, 0x300, s50                                   // 000000004678: 807C32FF 00000300
	v_mfma_i32_16x16x32_i8 v[132:135], a[8:9], v[248:249], v[132:135]// 000000004680: D3D70084 0E13F108
	v_mfma_i32_16x16x32_i8 v[132:135], a[10:11], v[250:251], v[132:135]// 000000004688: D3D70084 0E13F50A
	buffer_load_dwordx4 a[140:143], v34, s[92:95], 0 offen offset:3072// 000000004690: E05C1C00 80978C22
	v_mfma_i32_16x16x32_i8 v[132:135], a[12:13], v[252:253], v[132:135]// 000000004698: D3D70084 0E13F90C
	v_mfma_i32_16x16x32_i8 v[132:135], a[14:15], v[254:255], v[132:135]// 0000000046A0: D3D70084 0E13FD0E
	buffer_load_dword v29, s[20:23], 0 offen lds               // 0000000046A8: E0511000 8005001D
	s_add_u32 m0, 0x400, s50                                   // 0000000046B0: 807C32FF 00000400
	v_mfma_i32_16x16x32_i8 v[136:139], a[16:17], v[224:225], v[136:139]// 0000000046B8: D3D70088 0E23C110
	v_mfma_i32_16x16x32_i8 v[136:139], a[18:19], v[226:227], v[136:139]// 0000000046C0: D3D70088 0E23C512
	buffer_load_dwordx4 a[144:147], v35, s[92:95], 0 offen     // 0000000046C8: E05C1000 80979023
	v_mfma_i32_16x16x32_i8 v[136:139], a[20:21], v[228:229], v[136:139]// 0000000046D0: D3D70088 0E23C914
	v_mfma_i32_16x16x32_i8 v[136:139], a[22:23], v[230:231], v[136:139]// 0000000046D8: D3D70088 0E23CD16
	buffer_load_dword v30, s[20:23], 0 offen lds               // 0000000046E0: E0511000 8005001E
	s_add_u32 m0, 0x500, s50                                   // 0000000046E8: 807C32FF 00000500
	v_mfma_i32_16x16x32_i8 v[136:139], a[24:25], v[232:233], v[136:139]// 0000000046F0: D3D70088 0E23D118
	v_mfma_i32_16x16x32_i8 v[136:139], a[26:27], v[234:235], v[136:139]// 0000000046F8: D3D70088 0E23D51A
	buffer_load_dwordx4 a[148:151], v35, s[92:95], 0 offen offset:1024// 000000004700: E05C1400 80979423
	v_mfma_i32_16x16x32_i8 v[136:139], a[28:29], v[236:237], v[136:139]// 000000004708: D3D70088 0E23D91C
	v_mfma_i32_16x16x32_i8 v[136:139], a[30:31], v[238:239], v[136:139]// 000000004710: D3D70088 0E23DD1E
	buffer_load_dword v31, s[20:23], 0 offen lds               // 000000004718: E0511000 8005001F
	s_add_u32 m0, 0x600, s50                                   // 000000004720: 807C32FF 00000600
	v_mfma_i32_16x16x32_i8 v[140:143], a[16:17], v[240:241], v[140:143]// 000000004728: D3D7008C 0E33E110
	v_mfma_i32_16x16x32_i8 v[140:143], a[18:19], v[242:243], v[140:143]// 000000004730: D3D7008C 0E33E512
	buffer_load_dwordx4 a[152:155], v35, s[92:95], 0 offen offset:2048// 000000004738: E05C1800 80979823
	v_mfma_i32_16x16x32_i8 v[140:143], a[20:21], v[244:245], v[140:143]// 000000004740: D3D7008C 0E33E914
	v_mfma_i32_16x16x32_i8 v[140:143], a[22:23], v[246:247], v[140:143]// 000000004748: D3D7008C 0E33ED16
	buffer_load_dword v32, s[20:23], 0 offen lds               // 000000004750: E0511000 80050020
	s_add_u32 m0, 0x700, s50                                   // 000000004758: 807C32FF 00000700
	v_mfma_i32_16x16x32_i8 v[140:143], a[24:25], v[248:249], v[140:143]// 000000004760: D3D7008C 0E33F118
	v_mfma_i32_16x16x32_i8 v[140:143], a[26:27], v[250:251], v[140:143]// 000000004768: D3D7008C 0E33F51A
	buffer_load_dwordx4 a[156:159], v35, s[92:95], 0 offen offset:3072// 000000004770: E05C1C00 80979C23
	v_mfma_i32_16x16x32_i8 v[140:143], a[28:29], v[252:253], v[140:143]// 000000004778: D3D7008C 0E33F91C
	v_mfma_i32_16x16x32_i8 v[140:143], a[30:31], v[254:255], v[140:143]// 000000004780: D3D7008C 0E33FD1E
	buffer_load_dword v33, s[20:23], 0 offen lds               // 000000004788: E0511000 80050021
	s_add_u32 m0, 0, s51                                       // 000000004790: 807C3380
	s_waitcnt vmcnt(36)                                        // 000000004794: BF8C8F74
	v_mfma_i32_16x16x32_i8 v[144:147], a[32:33], v[224:225], v[144:147]// 000000004798: D3D70090 0E43C120
	v_mfma_i32_16x16x32_i8 v[144:147], a[34:35], v[226:227], v[144:147]// 0000000047A0: D3D70090 0E43C522
	buffer_load_dwordx4 a[160:163], v36, s[92:95], 0 offen     // 0000000047A8: E05C1000 8097A024
	v_mfma_i32_16x16x32_i8 v[144:147], a[36:37], v[228:229], v[144:147]// 0000000047B0: D3D70090 0E43C924
	v_mfma_i32_16x16x32_i8 v[144:147], a[38:39], v[230:231], v[144:147]// 0000000047B8: D3D70090 0E43CD26
	v_mfma_i32_16x16x32_i8 v[144:147], a[40:41], v[232:233], v[144:147]// 0000000047C0: D3D70090 0E43D128
	v_mfma_i32_16x16x32_i8 v[144:147], a[42:43], v[234:235], v[144:147]// 0000000047C8: D3D70090 0E43D52A
	buffer_load_dwordx4 a[164:167], v36, s[92:95], 0 offen offset:1024// 0000000047D0: E05C1400 8097A424
	v_mfma_i32_16x16x32_i8 v[144:147], a[44:45], v[236:237], v[144:147]// 0000000047D8: D3D70090 0E43D92C
	v_mfma_i32_16x16x32_i8 v[144:147], a[46:47], v[238:239], v[144:147]// 0000000047E0: D3D70090 0E43DD2E
	v_mfma_i32_16x16x32_i8 v[148:151], a[32:33], v[240:241], v[148:151]// 0000000047E8: D3D70094 0E53E120
	v_mfma_i32_16x16x32_i8 v[148:151], a[34:35], v[242:243], v[148:151]// 0000000047F0: D3D70094 0E53E522
	buffer_load_dwordx4 a[168:171], v36, s[92:95], 0 offen offset:2048// 0000000047F8: E05C1800 8097A824
	v_mfma_i32_16x16x32_i8 v[148:151], a[36:37], v[244:245], v[148:151]// 000000004800: D3D70094 0E53E924
	v_mfma_i32_16x16x32_i8 v[148:151], a[38:39], v[246:247], v[148:151]// 000000004808: D3D70094 0E53ED26
	v_mfma_i32_16x16x32_i8 v[148:151], a[40:41], v[248:249], v[148:151]// 000000004810: D3D70094 0E53F128
	v_mfma_i32_16x16x32_i8 v[148:151], a[42:43], v[250:251], v[148:151]// 000000004818: D3D70094 0E53F52A
	buffer_load_dwordx4 a[172:175], v36, s[92:95], 0 offen offset:3072// 000000004820: E05C1C00 8097AC24
	v_mfma_i32_16x16x32_i8 v[148:151], a[44:45], v[252:253], v[148:151]// 000000004828: D3D70094 0E53F92C
	v_mfma_i32_16x16x32_i8 v[148:151], a[46:47], v[254:255], v[148:151]// 000000004830: D3D70094 0E53FD2E
	s_waitcnt vmcnt(36)                                        // 000000004838: BF8C8F74
	v_mfma_i32_16x16x32_i8 v[152:155], a[48:49], v[224:225], v[152:155]// 00000000483C: D3D70098 0E63C130
	v_mfma_i32_16x16x32_i8 v[152:155], a[50:51], v[226:227], v[152:155]// 000000004844: D3D70098 0E63C532
	buffer_load_dwordx4 a[176:179], v37, s[92:95], 0 offen     // 00000000484C: E05C1000 8097B025
	v_mfma_i32_16x16x32_i8 v[152:155], a[52:53], v[228:229], v[152:155]// 000000004854: D3D70098 0E63C934
	v_mfma_i32_16x16x32_i8 v[152:155], a[54:55], v[230:231], v[152:155]// 00000000485C: D3D70098 0E63CD36
	v_mfma_i32_16x16x32_i8 v[152:155], a[56:57], v[232:233], v[152:155]// 000000004864: D3D70098 0E63D138
	v_mfma_i32_16x16x32_i8 v[152:155], a[58:59], v[234:235], v[152:155]// 00000000486C: D3D70098 0E63D53A
	buffer_load_dwordx4 a[180:183], v37, s[92:95], 0 offen offset:1024// 000000004874: E05C1400 8097B425
	v_mfma_i32_16x16x32_i8 v[152:155], a[60:61], v[236:237], v[152:155]// 00000000487C: D3D70098 0E63D93C
	v_mfma_i32_16x16x32_i8 v[152:155], a[62:63], v[238:239], v[152:155]// 000000004884: D3D70098 0E63DD3E
	v_mfma_i32_16x16x32_i8 v[156:159], a[48:49], v[240:241], v[156:159]// 00000000488C: D3D7009C 0E73E130
	v_mfma_i32_16x16x32_i8 v[156:159], a[50:51], v[242:243], v[156:159]// 000000004894: D3D7009C 0E73E532
	buffer_load_dwordx4 a[184:187], v37, s[92:95], 0 offen offset:2048// 00000000489C: E05C1800 8097B825
	v_mfma_i32_16x16x32_i8 v[156:159], a[52:53], v[244:245], v[156:159]// 0000000048A4: D3D7009C 0E73E934
	v_mfma_i32_16x16x32_i8 v[156:159], a[54:55], v[246:247], v[156:159]// 0000000048AC: D3D7009C 0E73ED36
	v_mfma_i32_16x16x32_i8 v[156:159], a[56:57], v[248:249], v[156:159]// 0000000048B4: D3D7009C 0E73F138
	v_mfma_i32_16x16x32_i8 v[156:159], a[58:59], v[250:251], v[156:159]// 0000000048BC: D3D7009C 0E73F53A
	buffer_load_dwordx4 a[188:191], v37, s[92:95], 0 offen offset:3072// 0000000048C4: E05C1C00 8097BC25
	v_mfma_i32_16x16x32_i8 v[156:159], a[60:61], v[252:253], v[156:159]// 0000000048CC: D3D7009C 0E73F93C
	v_mfma_i32_16x16x32_i8 v[156:159], a[62:63], v[254:255], v[156:159]// 0000000048D4: D3D7009C 0E73FD3E
	s_waitcnt vmcnt(36)                                        // 0000000048DC: BF8C8F74
	v_mfma_i32_16x16x32_i8 v[160:163], a[64:65], v[224:225], v[160:163]// 0000000048E0: D3D700A0 0E83C140
	v_mfma_i32_16x16x32_i8 v[160:163], a[66:67], v[226:227], v[160:163]// 0000000048E8: D3D700A0 0E83C542
	buffer_load_dwordx4 a[192:195], v38, s[92:95], 0 offen     // 0000000048F0: E05C1000 8097C026
	v_mfma_i32_16x16x32_i8 v[160:163], a[68:69], v[228:229], v[160:163]// 0000000048F8: D3D700A0 0E83C944
	v_mfma_i32_16x16x32_i8 v[160:163], a[70:71], v[230:231], v[160:163]// 000000004900: D3D700A0 0E83CD46
	v_mfma_i32_16x16x32_i8 v[160:163], a[72:73], v[232:233], v[160:163]// 000000004908: D3D700A0 0E83D148
	v_mfma_i32_16x16x32_i8 v[160:163], a[74:75], v[234:235], v[160:163]// 000000004910: D3D700A0 0E83D54A
	buffer_load_dwordx4 a[196:199], v38, s[92:95], 0 offen offset:1024// 000000004918: E05C1400 8097C426
	v_mfma_i32_16x16x32_i8 v[160:163], a[76:77], v[236:237], v[160:163]// 000000004920: D3D700A0 0E83D94C
	v_mfma_i32_16x16x32_i8 v[160:163], a[78:79], v[238:239], v[160:163]// 000000004928: D3D700A0 0E83DD4E
	v_mfma_i32_16x16x32_i8 v[164:167], a[64:65], v[240:241], v[164:167]// 000000004930: D3D700A4 0E93E140
	v_mfma_i32_16x16x32_i8 v[164:167], a[66:67], v[242:243], v[164:167]// 000000004938: D3D700A4 0E93E542
	buffer_load_dwordx4 a[200:203], v38, s[92:95], 0 offen offset:2048// 000000004940: E05C1800 8097C826
	v_mfma_i32_16x16x32_i8 v[164:167], a[68:69], v[244:245], v[164:167]// 000000004948: D3D700A4 0E93E944
	v_mfma_i32_16x16x32_i8 v[164:167], a[70:71], v[246:247], v[164:167]// 000000004950: D3D700A4 0E93ED46
	v_mfma_i32_16x16x32_i8 v[164:167], a[72:73], v[248:249], v[164:167]// 000000004958: D3D700A4 0E93F148
	v_mfma_i32_16x16x32_i8 v[164:167], a[74:75], v[250:251], v[164:167]// 000000004960: D3D700A4 0E93F54A
	buffer_load_dwordx4 a[204:207], v38, s[92:95], 0 offen offset:3072// 000000004968: E05C1C00 8097CC26
	v_mfma_i32_16x16x32_i8 v[164:167], a[76:77], v[252:253], v[164:167]// 000000004970: D3D700A4 0E93F94C
	v_mfma_i32_16x16x32_i8 v[164:167], a[78:79], v[254:255], v[164:167]// 000000004978: D3D700A4 0E93FD4E
	s_waitcnt vmcnt(36)                                        // 000000004980: BF8C8F74
	v_mfma_i32_16x16x32_i8 v[168:171], a[80:81], v[224:225], v[168:171]// 000000004984: D3D700A8 0EA3C150
	v_mfma_i32_16x16x32_i8 v[168:171], a[82:83], v[226:227], v[168:171]// 00000000498C: D3D700A8 0EA3C552
	buffer_load_dwordx4 a[208:211], v39, s[92:95], 0 offen     // 000000004994: E05C1000 8097D027
	v_mfma_i32_16x16x32_i8 v[168:171], a[84:85], v[228:229], v[168:171]// 00000000499C: D3D700A8 0EA3C954
	v_mfma_i32_16x16x32_i8 v[168:171], a[86:87], v[230:231], v[168:171]// 0000000049A4: D3D700A8 0EA3CD56
	v_mfma_i32_16x16x32_i8 v[168:171], a[88:89], v[232:233], v[168:171]// 0000000049AC: D3D700A8 0EA3D158
	v_mfma_i32_16x16x32_i8 v[168:171], a[90:91], v[234:235], v[168:171]// 0000000049B4: D3D700A8 0EA3D55A
	buffer_load_dwordx4 a[212:215], v39, s[92:95], 0 offen offset:1024// 0000000049BC: E05C1400 8097D427
	v_mfma_i32_16x16x32_i8 v[168:171], a[92:93], v[236:237], v[168:171]// 0000000049C4: D3D700A8 0EA3D95C
	v_mfma_i32_16x16x32_i8 v[168:171], a[94:95], v[238:239], v[168:171]// 0000000049CC: D3D700A8 0EA3DD5E
	v_mfma_i32_16x16x32_i8 v[172:175], a[80:81], v[240:241], v[172:175]// 0000000049D4: D3D700AC 0EB3E150
	v_mfma_i32_16x16x32_i8 v[172:175], a[82:83], v[242:243], v[172:175]// 0000000049DC: D3D700AC 0EB3E552
	buffer_load_dwordx4 a[216:219], v39, s[92:95], 0 offen offset:2048// 0000000049E4: E05C1800 8097D827
	v_mfma_i32_16x16x32_i8 v[172:175], a[84:85], v[244:245], v[172:175]// 0000000049EC: D3D700AC 0EB3E954
	v_mfma_i32_16x16x32_i8 v[172:175], a[86:87], v[246:247], v[172:175]// 0000000049F4: D3D700AC 0EB3ED56
	v_mfma_i32_16x16x32_i8 v[172:175], a[88:89], v[248:249], v[172:175]// 0000000049FC: D3D700AC 0EB3F158
	v_mfma_i32_16x16x32_i8 v[172:175], a[90:91], v[250:251], v[172:175]// 000000004A04: D3D700AC 0EB3F55A
	buffer_load_dwordx4 a[220:223], v39, s[92:95], 0 offen offset:3072// 000000004A0C: E05C1C00 8097DC27
	v_mfma_i32_16x16x32_i8 v[172:175], a[92:93], v[252:253], v[172:175]// 000000004A14: D3D700AC 0EB3F95C
	v_mfma_i32_16x16x32_i8 v[172:175], a[94:95], v[254:255], v[172:175]// 000000004A1C: D3D700AC 0EB3FD5E
	s_waitcnt vmcnt(36)                                        // 000000004A24: BF8C8F74
	v_mfma_i32_16x16x32_i8 v[176:179], a[96:97], v[224:225], v[176:179]// 000000004A28: D3D700B0 0EC3C160
	v_mfma_i32_16x16x32_i8 v[176:179], a[98:99], v[226:227], v[176:179]// 000000004A30: D3D700B0 0EC3C562
	buffer_load_dwordx4 a[224:227], v40, s[92:95], 0 offen     // 000000004A38: E05C1000 8097E028
	v_mfma_i32_16x16x32_i8 v[176:179], a[100:101], v[228:229], v[176:179]// 000000004A40: D3D700B0 0EC3C964
	v_mfma_i32_16x16x32_i8 v[176:179], a[102:103], v[230:231], v[176:179]// 000000004A48: D3D700B0 0EC3CD66
	v_mfma_i32_16x16x32_i8 v[176:179], a[104:105], v[232:233], v[176:179]// 000000004A50: D3D700B0 0EC3D168
	v_mfma_i32_16x16x32_i8 v[176:179], a[106:107], v[234:235], v[176:179]// 000000004A58: D3D700B0 0EC3D56A
	buffer_load_dwordx4 a[228:231], v40, s[92:95], 0 offen offset:1024// 000000004A60: E05C1400 8097E428
	v_mfma_i32_16x16x32_i8 v[176:179], a[108:109], v[236:237], v[176:179]// 000000004A68: D3D700B0 0EC3D96C
	v_mfma_i32_16x16x32_i8 v[176:179], a[110:111], v[238:239], v[176:179]// 000000004A70: D3D700B0 0EC3DD6E
	v_mfma_i32_16x16x32_i8 v[180:183], a[96:97], v[240:241], v[180:183]// 000000004A78: D3D700B4 0ED3E160
	v_mfma_i32_16x16x32_i8 v[180:183], a[98:99], v[242:243], v[180:183]// 000000004A80: D3D700B4 0ED3E562
	buffer_load_dwordx4 a[232:235], v40, s[92:95], 0 offen offset:2048// 000000004A88: E05C1800 8097E828
	v_mfma_i32_16x16x32_i8 v[180:183], a[100:101], v[244:245], v[180:183]// 000000004A90: D3D700B4 0ED3E964
	v_mfma_i32_16x16x32_i8 v[180:183], a[102:103], v[246:247], v[180:183]// 000000004A98: D3D700B4 0ED3ED66
	v_mfma_i32_16x16x32_i8 v[180:183], a[104:105], v[248:249], v[180:183]// 000000004AA0: D3D700B4 0ED3F168
	v_mfma_i32_16x16x32_i8 v[180:183], a[106:107], v[250:251], v[180:183]// 000000004AA8: D3D700B4 0ED3F56A
	buffer_load_dwordx4 a[236:239], v40, s[92:95], 0 offen offset:3072// 000000004AB0: E05C1C00 8097EC28
	v_mfma_i32_16x16x32_i8 v[180:183], a[108:109], v[252:253], v[180:183]// 000000004AB8: D3D700B4 0ED3F96C
	v_mfma_i32_16x16x32_i8 v[180:183], a[110:111], v[254:255], v[180:183]// 000000004AC0: D3D700B4 0ED3FD6E
	s_waitcnt vmcnt(36)                                        // 000000004AC8: BF8C8F74
	v_mfma_i32_16x16x32_i8 v[184:187], a[112:113], v[224:225], v[184:187]// 000000004ACC: D3D700B8 0EE3C170
	v_mfma_i32_16x16x32_i8 v[184:187], a[114:115], v[226:227], v[184:187]// 000000004AD4: D3D700B8 0EE3C572
	buffer_load_dwordx4 a[240:243], v41, s[92:95], 0 offen     // 000000004ADC: E05C1000 8097F029
	v_mfma_i32_16x16x32_i8 v[184:187], a[116:117], v[228:229], v[184:187]// 000000004AE4: D3D700B8 0EE3C974
	v_mfma_i32_16x16x32_i8 v[184:187], a[118:119], v[230:231], v[184:187]// 000000004AEC: D3D700B8 0EE3CD76
	v_mfma_i32_16x16x32_i8 v[184:187], a[120:121], v[232:233], v[184:187]// 000000004AF4: D3D700B8 0EE3D178
	v_mfma_i32_16x16x32_i8 v[184:187], a[122:123], v[234:235], v[184:187]// 000000004AFC: D3D700B8 0EE3D57A
	buffer_load_dwordx4 a[244:247], v41, s[92:95], 0 offen offset:1024// 000000004B04: E05C1400 8097F429
	v_mfma_i32_16x16x32_i8 v[184:187], a[124:125], v[236:237], v[184:187]// 000000004B0C: D3D700B8 0EE3D97C
	v_mfma_i32_16x16x32_i8 v[184:187], a[126:127], v[238:239], v[184:187]// 000000004B14: D3D700B8 0EE3DD7E
	v_mfma_i32_16x16x32_i8 v[188:191], a[112:113], v[240:241], v[188:191]// 000000004B1C: D3D700BC 0EF3E170
	v_mfma_i32_16x16x32_i8 v[188:191], a[114:115], v[242:243], v[188:191]// 000000004B24: D3D700BC 0EF3E572
	buffer_load_dwordx4 a[248:251], v41, s[92:95], 0 offen offset:2048// 000000004B2C: E05C1800 8097F829
	v_mfma_i32_16x16x32_i8 v[188:191], a[116:117], v[244:245], v[188:191]// 000000004B34: D3D700BC 0EF3E974
	v_mfma_i32_16x16x32_i8 v[188:191], a[118:119], v[246:247], v[188:191]// 000000004B3C: D3D700BC 0EF3ED76
	v_mfma_i32_16x16x32_i8 v[188:191], a[120:121], v[248:249], v[188:191]// 000000004B44: D3D700BC 0EF3F178
	v_mfma_i32_16x16x32_i8 v[188:191], a[122:123], v[250:251], v[188:191]// 000000004B4C: D3D700BC 0EF3F57A
	buffer_load_dwordx4 a[252:255], v41, s[92:95], 0 offen offset:3072// 000000004B54: E05C1C00 8097FC29
	v_mfma_i32_16x16x32_i8 v[188:191], a[124:125], v[252:253], v[188:191]// 000000004B5C: D3D700BC 0EF3F97C
	v_mfma_i32_16x16x32_i8 v[188:191], a[126:127], v[254:255], v[188:191]// 000000004B64: D3D700BC 0EF3FD7E
	s_waitcnt vmcnt(24)                                        // 000000004B6C: BF8C4F78
	s_barrier                                                  // 000000004B70: BF8A0000
	v_mfma_i32_16x16x32_i8 v[64:67], a[128:129], v[224:225], v[64:67]// 000000004B74: D3D70040 0D03C180
	v_mfma_i32_16x16x32_i8 v[64:67], a[130:131], v[226:227], v[64:67]// 000000004B7C: D3D70040 0D03C582
	buffer_load_dwordx4 a[0:3], v34, s[24:27], 0 offen         // 000000004B84: E05C1000 80860022
	v_mfma_i32_16x16x32_i8 v[64:67], a[132:133], v[228:229], v[64:67]// 000000004B8C: D3D70040 0D03C984
	v_mfma_i32_16x16x32_i8 v[64:67], a[134:135], v[230:231], v[64:67]// 000000004B94: D3D70040 0D03CD86
	v_mfma_i32_16x16x32_i8 v[64:67], a[136:137], v[232:233], v[64:67]// 000000004B9C: D3D70040 0D03D188
	v_mfma_i32_16x16x32_i8 v[64:67], a[138:139], v[234:235], v[64:67]// 000000004BA4: D3D70040 0D03D58A
	buffer_load_dwordx4 a[4:7], v34, s[24:27], 0 offen offset:1024// 000000004BAC: E05C1400 80860422
	v_mfma_i32_16x16x32_i8 v[64:67], a[140:141], v[236:237], v[64:67]// 000000004BB4: D3D70040 0D03D98C
	v_mfma_i32_16x16x32_i8 v[64:67], a[142:143], v[238:239], v[64:67]// 000000004BBC: D3D70040 0D03DD8E
	v_mfma_i32_16x16x32_i8 v[68:71], a[128:129], v[240:241], v[68:71]// 000000004BC4: D3D70044 0D13E180
	v_mfma_i32_16x16x32_i8 v[68:71], a[130:131], v[242:243], v[68:71]// 000000004BCC: D3D70044 0D13E582
	buffer_load_dwordx4 a[8:11], v34, s[24:27], 0 offen offset:2048// 000000004BD4: E05C1800 80860822
	v_mfma_i32_16x16x32_i8 v[68:71], a[132:133], v[244:245], v[68:71]// 000000004BDC: D3D70044 0D13E984
	v_mfma_i32_16x16x32_i8 v[68:71], a[134:135], v[246:247], v[68:71]// 000000004BE4: D3D70044 0D13ED86
	v_mfma_i32_16x16x32_i8 v[68:71], a[136:137], v[248:249], v[68:71]// 000000004BEC: D3D70044 0D13F188
	v_mfma_i32_16x16x32_i8 v[68:71], a[138:139], v[250:251], v[68:71]// 000000004BF4: D3D70044 0D13F58A
	buffer_load_dwordx4 a[12:15], v34, s[24:27], 0 offen offset:3072// 000000004BFC: E05C1C00 80860C22
	v_mfma_i32_16x16x32_i8 v[68:71], a[140:141], v[252:253], v[68:71]// 000000004C04: D3D70044 0D13F98C
	v_mfma_i32_16x16x32_i8 v[68:71], a[142:143], v[254:255], v[68:71]// 000000004C0C: D3D70044 0D13FD8E
	v_mfma_i32_16x16x32_i8 v[72:75], a[144:145], v[224:225], v[72:75]// 000000004C14: D3D70048 0D23C190
	v_mfma_i32_16x16x32_i8 v[72:75], a[146:147], v[226:227], v[72:75]// 000000004C1C: D3D70048 0D23C592
	buffer_load_dwordx4 a[16:19], v35, s[24:27], 0 offen       // 000000004C24: E05C1000 80861023
	v_mfma_i32_16x16x32_i8 v[72:75], a[148:149], v[228:229], v[72:75]// 000000004C2C: D3D70048 0D23C994
	v_mfma_i32_16x16x32_i8 v[72:75], a[150:151], v[230:231], v[72:75]// 000000004C34: D3D70048 0D23CD96
	v_mfma_i32_16x16x32_i8 v[72:75], a[152:153], v[232:233], v[72:75]// 000000004C3C: D3D70048 0D23D198
	v_mfma_i32_16x16x32_i8 v[72:75], a[154:155], v[234:235], v[72:75]// 000000004C44: D3D70048 0D23D59A
	buffer_load_dwordx4 a[20:23], v35, s[24:27], 0 offen offset:1024// 000000004C4C: E05C1400 80861423
	v_mfma_i32_16x16x32_i8 v[72:75], a[156:157], v[236:237], v[72:75]// 000000004C54: D3D70048 0D23D99C
	v_mfma_i32_16x16x32_i8 v[72:75], a[158:159], v[238:239], v[72:75]// 000000004C5C: D3D70048 0D23DD9E
	v_mfma_i32_16x16x32_i8 v[76:79], a[144:145], v[240:241], v[76:79]// 000000004C64: D3D7004C 0D33E190
	v_mfma_i32_16x16x32_i8 v[76:79], a[146:147], v[242:243], v[76:79]// 000000004C6C: D3D7004C 0D33E592
	buffer_load_dwordx4 a[24:27], v35, s[24:27], 0 offen offset:2048// 000000004C74: E05C1800 80861823
	v_mfma_i32_16x16x32_i8 v[76:79], a[148:149], v[244:245], v[76:79]// 000000004C7C: D3D7004C 0D33E994
	v_mfma_i32_16x16x32_i8 v[76:79], a[150:151], v[246:247], v[76:79]// 000000004C84: D3D7004C 0D33ED96
	v_mfma_i32_16x16x32_i8 v[76:79], a[152:153], v[248:249], v[76:79]// 000000004C8C: D3D7004C 0D33F198
	v_mfma_i32_16x16x32_i8 v[76:79], a[154:155], v[250:251], v[76:79]// 000000004C94: D3D7004C 0D33F59A
	buffer_load_dwordx4 a[28:31], v35, s[24:27], 0 offen offset:3072// 000000004C9C: E05C1C00 80861C23
	v_mfma_i32_16x16x32_i8 v[76:79], a[156:157], v[252:253], v[76:79]// 000000004CA4: D3D7004C 0D33F99C
	v_mfma_i32_16x16x32_i8 v[76:79], a[158:159], v[254:255], v[76:79]// 000000004CAC: D3D7004C 0D33FD9E
	s_waitcnt vmcnt(28)                                        // 000000004CB4: BF8C4F7C
	v_mfma_i32_16x16x32_i8 v[80:83], a[160:161], v[224:225], v[80:83]// 000000004CB8: D3D70050 0D43C1A0
	v_mfma_i32_16x16x32_i8 v[80:83], a[162:163], v[226:227], v[80:83]// 000000004CC0: D3D70050 0D43C5A2
	buffer_load_dwordx4 a[32:35], v36, s[24:27], 0 offen       // 000000004CC8: E05C1000 80862024
	v_mfma_i32_16x16x32_i8 v[80:83], a[164:165], v[228:229], v[80:83]// 000000004CD0: D3D70050 0D43C9A4
	v_mfma_i32_16x16x32_i8 v[80:83], a[166:167], v[230:231], v[80:83]// 000000004CD8: D3D70050 0D43CDA6
	ds_read_b128 v[192:195], v2                                // 000000004CE0: D9FE0000 C0000002
	v_mfma_i32_16x16x32_i8 v[80:83], a[168:169], v[232:233], v[80:83]// 000000004CE8: D3D70050 0D43D1A8
	v_mfma_i32_16x16x32_i8 v[80:83], a[170:171], v[234:235], v[80:83]// 000000004CF0: D3D70050 0D43D5AA
	buffer_load_dwordx4 a[36:39], v36, s[24:27], 0 offen offset:1024// 000000004CF8: E05C1400 80862424
	v_mfma_i32_16x16x32_i8 v[80:83], a[172:173], v[236:237], v[80:83]// 000000004D00: D3D70050 0D43D9AC
	v_mfma_i32_16x16x32_i8 v[80:83], a[174:175], v[238:239], v[80:83]// 000000004D08: D3D70050 0D43DDAE
	ds_read_b128 v[196:199], v2 offset:64                      // 000000004D10: D9FE0040 C4000002
	v_mfma_i32_16x16x32_i8 v[84:87], a[160:161], v[240:241], v[84:87]// 000000004D18: D3D70054 0D53E1A0
	v_mfma_i32_16x16x32_i8 v[84:87], a[162:163], v[242:243], v[84:87]// 000000004D20: D3D70054 0D53E5A2
	buffer_load_dwordx4 a[40:43], v36, s[24:27], 0 offen offset:2048// 000000004D28: E05C1800 80862824
	v_mfma_i32_16x16x32_i8 v[84:87], a[164:165], v[244:245], v[84:87]// 000000004D30: D3D70054 0D53E9A4
	v_mfma_i32_16x16x32_i8 v[84:87], a[166:167], v[246:247], v[84:87]// 000000004D38: D3D70054 0D53EDA6
	ds_read_b128 v[200:203], v2 offset:128                     // 000000004D40: D9FE0080 C8000002
	v_mfma_i32_16x16x32_i8 v[84:87], a[168:169], v[248:249], v[84:87]// 000000004D48: D3D70054 0D53F1A8
	v_mfma_i32_16x16x32_i8 v[84:87], a[170:171], v[250:251], v[84:87]// 000000004D50: D3D70054 0D53F5AA
	buffer_load_dwordx4 a[44:47], v36, s[24:27], 0 offen offset:3072// 000000004D58: E05C1C00 80862C24
	v_mfma_i32_16x16x32_i8 v[84:87], a[172:173], v[252:253], v[84:87]// 000000004D60: D3D70054 0D53F9AC
	v_mfma_i32_16x16x32_i8 v[84:87], a[174:175], v[254:255], v[84:87]// 000000004D68: D3D70054 0D53FDAE
	ds_read_b128 v[204:207], v2 offset:192                     // 000000004D70: D9FE00C0 CC000002
	s_waitcnt vmcnt(28)                                        // 000000004D78: BF8C4F7C
	v_mfma_i32_16x16x32_i8 v[88:91], a[176:177], v[224:225], v[88:91]// 000000004D7C: D3D70058 0D63C1B0
	v_mfma_i32_16x16x32_i8 v[88:91], a[178:179], v[226:227], v[88:91]// 000000004D84: D3D70058 0D63C5B2
	buffer_load_dwordx4 a[48:51], v37, s[24:27], 0 offen       // 000000004D8C: E05C1000 80863025
	v_mfma_i32_16x16x32_i8 v[88:91], a[180:181], v[228:229], v[88:91]// 000000004D94: D3D70058 0D63C9B4
	v_mfma_i32_16x16x32_i8 v[88:91], a[182:183], v[230:231], v[88:91]// 000000004D9C: D3D70058 0D63CDB6
	ds_read_b128 v[208:211], v2 offset:1024                    // 000000004DA4: D9FE0400 D0000002
	v_mfma_i32_16x16x32_i8 v[88:91], a[184:185], v[232:233], v[88:91]// 000000004DAC: D3D70058 0D63D1B8
	v_mfma_i32_16x16x32_i8 v[88:91], a[186:187], v[234:235], v[88:91]// 000000004DB4: D3D70058 0D63D5BA
	buffer_load_dwordx4 a[52:55], v37, s[24:27], 0 offen offset:1024// 000000004DBC: E05C1400 80863425
	v_mfma_i32_16x16x32_i8 v[88:91], a[188:189], v[236:237], v[88:91]// 000000004DC4: D3D70058 0D63D9BC
	v_mfma_i32_16x16x32_i8 v[88:91], a[190:191], v[238:239], v[88:91]// 000000004DCC: D3D70058 0D63DDBE
	ds_read_b128 v[212:215], v2 offset:1088                    // 000000004DD4: D9FE0440 D4000002
	v_mfma_i32_16x16x32_i8 v[92:95], a[176:177], v[240:241], v[92:95]// 000000004DDC: D3D7005C 0D73E1B0
	v_mfma_i32_16x16x32_i8 v[92:95], a[178:179], v[242:243], v[92:95]// 000000004DE4: D3D7005C 0D73E5B2
	buffer_load_dwordx4 a[56:59], v37, s[24:27], 0 offen offset:2048// 000000004DEC: E05C1800 80863825
	v_mfma_i32_16x16x32_i8 v[92:95], a[180:181], v[244:245], v[92:95]// 000000004DF4: D3D7005C 0D73E9B4
	v_mfma_i32_16x16x32_i8 v[92:95], a[182:183], v[246:247], v[92:95]// 000000004DFC: D3D7005C 0D73EDB6
	ds_read_b128 v[216:219], v2 offset:1152                    // 000000004E04: D9FE0480 D8000002
	v_mfma_i32_16x16x32_i8 v[92:95], a[184:185], v[248:249], v[92:95]// 000000004E0C: D3D7005C 0D73F1B8
	v_mfma_i32_16x16x32_i8 v[92:95], a[186:187], v[250:251], v[92:95]// 000000004E14: D3D7005C 0D73F5BA
	buffer_load_dwordx4 a[60:63], v37, s[24:27], 0 offen offset:3072// 000000004E1C: E05C1C00 80863C25
	v_mfma_i32_16x16x32_i8 v[92:95], a[188:189], v[252:253], v[92:95]// 000000004E24: D3D7005C 0D73F9BC
	v_mfma_i32_16x16x32_i8 v[92:95], a[190:191], v[254:255], v[92:95]// 000000004E2C: D3D7005C 0D73FDBE
	ds_read_b128 v[220:223], v2 offset:1216                    // 000000004E34: D9FE04C0 DC000002
	s_waitcnt vmcnt(28)                                        // 000000004E3C: BF8C4F7C
	v_mfma_i32_16x16x32_i8 v[96:99], a[192:193], v[224:225], v[96:99]// 000000004E40: D3D70060 0D83C1C0
	v_mfma_i32_16x16x32_i8 v[96:99], a[194:195], v[226:227], v[96:99]// 000000004E48: D3D70060 0D83C5C2
	buffer_load_dwordx4 a[64:67], v38, s[24:27], 0 offen       // 000000004E50: E05C1000 80864026
	v_mfma_i32_16x16x32_i8 v[96:99], a[196:197], v[228:229], v[96:99]// 000000004E58: D3D70060 0D83C9C4
	v_mfma_i32_16x16x32_i8 v[96:99], a[198:199], v[230:231], v[96:99]// 000000004E60: D3D70060 0D83CDC6
	v_mfma_i32_16x16x32_i8 v[96:99], a[200:201], v[232:233], v[96:99]// 000000004E68: D3D70060 0D83D1C8
	v_mfma_i32_16x16x32_i8 v[96:99], a[202:203], v[234:235], v[96:99]// 000000004E70: D3D70060 0D83D5CA
	buffer_load_dwordx4 a[68:71], v38, s[24:27], 0 offen offset:1024// 000000004E78: E05C1400 80864426
	v_mfma_i32_16x16x32_i8 v[96:99], a[204:205], v[236:237], v[96:99]// 000000004E80: D3D70060 0D83D9CC
	v_mfma_i32_16x16x32_i8 v[96:99], a[206:207], v[238:239], v[96:99]// 000000004E88: D3D70060 0D83DDCE
	v_mfma_i32_16x16x32_i8 v[100:103], a[192:193], v[240:241], v[100:103]// 000000004E90: D3D70064 0D93E1C0
	v_mfma_i32_16x16x32_i8 v[100:103], a[194:195], v[242:243], v[100:103]// 000000004E98: D3D70064 0D93E5C2
	buffer_load_dwordx4 a[72:75], v38, s[24:27], 0 offen offset:2048// 000000004EA0: E05C1800 80864826
	v_mfma_i32_16x16x32_i8 v[100:103], a[196:197], v[244:245], v[100:103]// 000000004EA8: D3D70064 0D93E9C4
	v_mfma_i32_16x16x32_i8 v[100:103], a[198:199], v[246:247], v[100:103]// 000000004EB0: D3D70064 0D93EDC6
	v_mfma_i32_16x16x32_i8 v[100:103], a[200:201], v[248:249], v[100:103]// 000000004EB8: D3D70064 0D93F1C8
	v_mfma_i32_16x16x32_i8 v[100:103], a[202:203], v[250:251], v[100:103]// 000000004EC0: D3D70064 0D93F5CA
	buffer_load_dwordx4 a[76:79], v38, s[24:27], 0 offen offset:3072// 000000004EC8: E05C1C00 80864C26
	v_mfma_i32_16x16x32_i8 v[100:103], a[204:205], v[252:253], v[100:103]// 000000004ED0: D3D70064 0D93F9CC
	v_mfma_i32_16x16x32_i8 v[100:103], a[206:207], v[254:255], v[100:103]// 000000004ED8: D3D70064 0D93FDCE
	s_waitcnt vmcnt(28)                                        // 000000004EE0: BF8C4F7C
	v_mfma_i32_16x16x32_i8 v[104:107], a[208:209], v[224:225], v[104:107]// 000000004EE4: D3D70068 0DA3C1D0
	v_mfma_i32_16x16x32_i8 v[104:107], a[210:211], v[226:227], v[104:107]// 000000004EEC: D3D70068 0DA3C5D2
	buffer_load_dwordx4 a[80:83], v39, s[24:27], 0 offen       // 000000004EF4: E05C1000 80865027
	v_mfma_i32_16x16x32_i8 v[104:107], a[212:213], v[228:229], v[104:107]// 000000004EFC: D3D70068 0DA3C9D4
	v_mfma_i32_16x16x32_i8 v[104:107], a[214:215], v[230:231], v[104:107]// 000000004F04: D3D70068 0DA3CDD6
	v_mfma_i32_16x16x32_i8 v[104:107], a[216:217], v[232:233], v[104:107]// 000000004F0C: D3D70068 0DA3D1D8
	v_mfma_i32_16x16x32_i8 v[104:107], a[218:219], v[234:235], v[104:107]// 000000004F14: D3D70068 0DA3D5DA
	buffer_load_dwordx4 a[84:87], v39, s[24:27], 0 offen offset:1024// 000000004F1C: E05C1400 80865427
	v_mfma_i32_16x16x32_i8 v[104:107], a[220:221], v[236:237], v[104:107]// 000000004F24: D3D70068 0DA3D9DC
	v_mfma_i32_16x16x32_i8 v[104:107], a[222:223], v[238:239], v[104:107]// 000000004F2C: D3D70068 0DA3DDDE
	v_mfma_i32_16x16x32_i8 v[108:111], a[208:209], v[240:241], v[108:111]// 000000004F34: D3D7006C 0DB3E1D0
	v_mfma_i32_16x16x32_i8 v[108:111], a[210:211], v[242:243], v[108:111]// 000000004F3C: D3D7006C 0DB3E5D2
	buffer_load_dwordx4 a[88:91], v39, s[24:27], 0 offen offset:2048// 000000004F44: E05C1800 80865827
	v_mfma_i32_16x16x32_i8 v[108:111], a[212:213], v[244:245], v[108:111]// 000000004F4C: D3D7006C 0DB3E9D4
	v_mfma_i32_16x16x32_i8 v[108:111], a[214:215], v[246:247], v[108:111]// 000000004F54: D3D7006C 0DB3EDD6
	v_mfma_i32_16x16x32_i8 v[108:111], a[216:217], v[248:249], v[108:111]// 000000004F5C: D3D7006C 0DB3F1D8
	v_mfma_i32_16x16x32_i8 v[108:111], a[218:219], v[250:251], v[108:111]// 000000004F64: D3D7006C 0DB3F5DA
	buffer_load_dwordx4 a[92:95], v39, s[24:27], 0 offen offset:3072// 000000004F6C: E05C1C00 80865C27
	v_mfma_i32_16x16x32_i8 v[108:111], a[220:221], v[252:253], v[108:111]// 000000004F74: D3D7006C 0DB3F9DC
	v_mfma_i32_16x16x32_i8 v[108:111], a[222:223], v[254:255], v[108:111]// 000000004F7C: D3D7006C 0DB3FDDE
	s_waitcnt vmcnt(28)                                        // 000000004F84: BF8C4F7C
	v_mfma_i32_16x16x32_i8 v[112:115], a[224:225], v[224:225], v[112:115]// 000000004F88: D3D70070 0DC3C1E0
	v_mfma_i32_16x16x32_i8 v[112:115], a[226:227], v[226:227], v[112:115]// 000000004F90: D3D70070 0DC3C5E2
	buffer_load_dwordx4 a[96:99], v40, s[24:27], 0 offen       // 000000004F98: E05C1000 80866028
	v_mfma_i32_16x16x32_i8 v[112:115], a[228:229], v[228:229], v[112:115]// 000000004FA0: D3D70070 0DC3C9E4
	v_mfma_i32_16x16x32_i8 v[112:115], a[230:231], v[230:231], v[112:115]// 000000004FA8: D3D70070 0DC3CDE6
	v_mfma_i32_16x16x32_i8 v[112:115], a[232:233], v[232:233], v[112:115]// 000000004FB0: D3D70070 0DC3D1E8
	v_mfma_i32_16x16x32_i8 v[112:115], a[234:235], v[234:235], v[112:115]// 000000004FB8: D3D70070 0DC3D5EA
	buffer_load_dwordx4 a[100:103], v40, s[24:27], 0 offen offset:1024// 000000004FC0: E05C1400 80866428
	v_mfma_i32_16x16x32_i8 v[112:115], a[236:237], v[236:237], v[112:115]// 000000004FC8: D3D70070 0DC3D9EC
	v_mfma_i32_16x16x32_i8 v[112:115], a[238:239], v[238:239], v[112:115]// 000000004FD0: D3D70070 0DC3DDEE
	v_mfma_i32_16x16x32_i8 v[116:119], a[224:225], v[240:241], v[116:119]// 000000004FD8: D3D70074 0DD3E1E0
	v_mfma_i32_16x16x32_i8 v[116:119], a[226:227], v[242:243], v[116:119]// 000000004FE0: D3D70074 0DD3E5E2
	buffer_load_dwordx4 a[104:107], v40, s[24:27], 0 offen offset:2048// 000000004FE8: E05C1800 80866828
	v_mfma_i32_16x16x32_i8 v[116:119], a[228:229], v[244:245], v[116:119]// 000000004FF0: D3D70074 0DD3E9E4
	v_mfma_i32_16x16x32_i8 v[116:119], a[230:231], v[246:247], v[116:119]// 000000004FF8: D3D70074 0DD3EDE6
	v_mfma_i32_16x16x32_i8 v[116:119], a[232:233], v[248:249], v[116:119]// 000000005000: D3D70074 0DD3F1E8
	v_mfma_i32_16x16x32_i8 v[116:119], a[234:235], v[250:251], v[116:119]// 000000005008: D3D70074 0DD3F5EA
	buffer_load_dwordx4 a[108:111], v40, s[24:27], 0 offen offset:3072// 000000005010: E05C1C00 80866C28
	v_mfma_i32_16x16x32_i8 v[116:119], a[236:237], v[252:253], v[116:119]// 000000005018: D3D70074 0DD3F9EC
	v_mfma_i32_16x16x32_i8 v[116:119], a[238:239], v[254:255], v[116:119]// 000000005020: D3D70074 0DD3FDEE
	s_waitcnt vmcnt(28)                                        // 000000005028: BF8C4F7C
	v_mfma_i32_16x16x32_i8 v[120:123], a[240:241], v[224:225], v[120:123]// 00000000502C: D3D70078 0DE3C1F0
	v_mfma_i32_16x16x32_i8 v[120:123], a[242:243], v[226:227], v[120:123]// 000000005034: D3D70078 0DE3C5F2
	buffer_load_dwordx4 a[112:115], v41, s[24:27], 0 offen     // 00000000503C: E05C1000 80867029
	v_mfma_i32_16x16x32_i8 v[120:123], a[244:245], v[228:229], v[120:123]// 000000005044: D3D70078 0DE3C9F4
	v_mfma_i32_16x16x32_i8 v[120:123], a[246:247], v[230:231], v[120:123]// 00000000504C: D3D70078 0DE3CDF6
	v_mfma_i32_16x16x32_i8 v[120:123], a[248:249], v[232:233], v[120:123]// 000000005054: D3D70078 0DE3D1F8
	v_mfma_i32_16x16x32_i8 v[120:123], a[250:251], v[234:235], v[120:123]// 00000000505C: D3D70078 0DE3D5FA
	buffer_load_dwordx4 a[116:119], v41, s[24:27], 0 offen offset:1024// 000000005064: E05C1400 80867429
	v_mfma_i32_16x16x32_i8 v[120:123], a[252:253], v[236:237], v[120:123]// 00000000506C: D3D70078 0DE3D9FC
	v_mfma_i32_16x16x32_i8 v[120:123], a[254:255], v[238:239], v[120:123]// 000000005074: D3D70078 0DE3DDFE
	v_mfma_i32_16x16x32_i8 v[124:127], a[240:241], v[240:241], v[124:127]// 00000000507C: D3D7007C 0DF3E1F0
	v_mfma_i32_16x16x32_i8 v[124:127], a[242:243], v[242:243], v[124:127]// 000000005084: D3D7007C 0DF3E5F2
	buffer_load_dwordx4 a[120:123], v41, s[24:27], 0 offen offset:2048// 00000000508C: E05C1800 80867829
	v_mfma_i32_16x16x32_i8 v[124:127], a[244:245], v[244:245], v[124:127]// 000000005094: D3D7007C 0DF3E9F4
	v_mfma_i32_16x16x32_i8 v[124:127], a[246:247], v[246:247], v[124:127]// 00000000509C: D3D7007C 0DF3EDF6
	v_mfma_i32_16x16x32_i8 v[124:127], a[248:249], v[248:249], v[124:127]// 0000000050A4: D3D7007C 0DF3F1F8
	v_mfma_i32_16x16x32_i8 v[124:127], a[250:251], v[250:251], v[124:127]// 0000000050AC: D3D7007C 0DF3F5FA
	buffer_load_dwordx4 a[124:127], v41, s[24:27], 0 offen offset:3072// 0000000050B4: E05C1C00 80867C29
	v_mfma_i32_16x16x32_i8 v[124:127], a[252:253], v[252:253], v[124:127]// 0000000050BC: D3D7007C 0DF3F9FC
	v_mfma_i32_16x16x32_i8 v[124:127], a[254:255], v[254:255], v[124:127]// 0000000050C4: D3D7007C 0DF3FDFE
	s_add_u32 s60, 0x200, s80                                  // 0000000050CC: 803C50FF 00000200
	s_cmp_lt_u32 s60, s81                                      // 0000000050D4: BF0A513C
	s_cselect_b32 s57, s57, 0                                  // 0000000050D8: 85398039
	s_add_u32 s60, 0x200, s80                                  // 0000000050DC: 803C50FF 00000200
	s_cmp_lt_u32 s60, s81                                      // 0000000050E4: BF0A513C
	s_cselect_b32 s58, s58, 0                                  // 0000000050E8: 853A803A
	s_add_u32 s20, s57, s20                                    // 0000000050EC: 80141439
	s_addc_u32 s21, 0, s21                                     // 0000000050F0: 82151580
	s_add_u32 s24, s58, s24                                    // 0000000050F4: 8018183A
	s_addc_u32 s25, 0, s25                                     // 0000000050F8: 82191980
	s_add_u32 s92, s90, s92                                    // 0000000050FC: 805C5C5A
	s_addc_u32 s93, 0, s93                                     // 000000005100: 825D5D80
	s_addk_i32 s80, 0x100                                      // 000000005104: B7500100
	s_cmp_lt_i32 s80, s81                                      // 000000005108: BF045150
	s_cbranch_scc0 label_08C5                                  // 00000000510C: BF840001
	s_branch label_0324                                        // 000000005110: BF82FA5F

0000000000005114 <label_08C5>:
	s_mov_b32 s36, -1                                          // 000000005114: BEA400C1
	s_mov_b32 s37, -1                                          // 000000005118: BEA500C1
	s_mov_b64 s[60:61], 0                                      // 00000000511C: BEBC0180
	s_cmp_lt_u32 s82, s66                                      // 000000005120: BF0A4252
	s_cselect_b64 s[20:21], s[36:37], s[60:61]                 // 000000005124: 85943C24
	s_cmp_lt_u32 s83, s66                                      // 000000005128: BF0A4253
	s_cselect_b64 s[22:23], s[36:37], s[60:61]                 // 00000000512C: 85963C24
	s_cmp_lt_u32 s84, s66                                      // 000000005130: BF0A4254
	s_cselect_b64 s[24:25], s[36:37], s[60:61]                 // 000000005134: 85983C24
	s_cmp_lt_u32 s85, s66                                      // 000000005138: BF0A4255
	s_cselect_b64 s[26:27], s[36:37], s[60:61]                 // 00000000513C: 859A3C24
	s_cmp_lt_u32 s86, s66                                      // 000000005140: BF0A4256
	s_cselect_b64 s[28:29], s[36:37], s[60:61]                 // 000000005144: 859C3C24
	s_cmp_lt_u32 s87, s66                                      // 000000005148: BF0A4257
	s_cselect_b64 s[30:31], s[36:37], s[60:61]                 // 00000000514C: 859E3C24
	s_cmp_lt_u32 s88, s66                                      // 000000005150: BF0A4258
	s_cselect_b64 s[32:33], s[36:37], s[60:61]                 // 000000005154: 85A03C24
	s_cmp_lt_u32 s89, s66                                      // 000000005158: BF0A4259
	s_cselect_b64 s[34:35], s[36:37], s[60:61]                 // 00000000515C: 85A23C24
	v_cvt_f32_i32_e32 v128, v128                               // 000000005160: 7F000B80
	v_cvt_f32_i32_e32 v129, v129                               // 000000005164: 7F020B81
	v_cvt_f32_i32_e32 v130, v130                               // 000000005168: 7F040B82
	v_cvt_f32_i32_e32 v131, v131                               // 00000000516C: 7F060B83
	v_mul_f32_e32 v128, v14, v128                              // 000000005170: 0B01010E
	v_mul_f32_e32 v129, v14, v129                              // 000000005174: 0B03030E
	v_mul_f32_e32 v130, v14, v130                              // 000000005178: 0B05050E
	v_mul_f32_e32 v131, v14, v131                              // 00000000517C: 0B07070E
	v_mul_f32_dpp v128, v16, v128 row_newbcast:0 row_mask:0xf bank_mask:0xf// 000000005180: 0B0100FA FF015010
	v_mul_f32_dpp v129, v16, v129 row_newbcast:1 row_mask:0xf bank_mask:0xf// 000000005188: 0B0302FA FF015110
	v_mul_f32_dpp v130, v16, v130 row_newbcast:2 row_mask:0xf bank_mask:0xf// 000000005190: 0B0504FA FF015210
	v_mul_f32_dpp v131, v16, v131 row_newbcast:3 row_mask:0xf bank_mask:0xf// 000000005198: 0B0706FA FF015310
	v_cvt_f32_i32_e32 v132, v132                               // 0000000051A0: 7F080B84
	v_cvt_f32_i32_e32 v133, v133                               // 0000000051A4: 7F0A0B85
	v_cvt_f32_i32_e32 v134, v134                               // 0000000051A8: 7F0C0B86
	v_cvt_f32_i32_e32 v135, v135                               // 0000000051AC: 7F0E0B87
	v_mul_f32_e32 v132, v15, v132                              // 0000000051B0: 0B09090F
	v_mul_f32_e32 v133, v15, v133                              // 0000000051B4: 0B0B0B0F
	v_mul_f32_e32 v134, v15, v134                              // 0000000051B8: 0B0D0D0F
	v_mul_f32_e32 v135, v15, v135                              // 0000000051BC: 0B0F0F0F
	v_mul_f32_dpp v132, v16, v132 row_newbcast:0 row_mask:0xf bank_mask:0xf// 0000000051C0: 0B0908FA FF015010
	v_mul_f32_dpp v133, v16, v133 row_newbcast:1 row_mask:0xf bank_mask:0xf// 0000000051C8: 0B0B0AFA FF015110
	v_mul_f32_dpp v134, v16, v134 row_newbcast:2 row_mask:0xf bank_mask:0xf// 0000000051D0: 0B0D0CFA FF015210
	v_mul_f32_dpp v135, v16, v135 row_newbcast:3 row_mask:0xf bank_mask:0xf// 0000000051D8: 0B0F0EFA FF015310
	v_cvt_f32_i32_e32 v136, v136                               // 0000000051E0: 7F100B88
	v_cvt_f32_i32_e32 v137, v137                               // 0000000051E4: 7F120B89
	v_cvt_f32_i32_e32 v138, v138                               // 0000000051E8: 7F140B8A
	v_cvt_f32_i32_e32 v139, v139                               // 0000000051EC: 7F160B8B
	v_mul_f32_e32 v136, v14, v136                              // 0000000051F0: 0B11110E
	v_mul_f32_e32 v137, v14, v137                              // 0000000051F4: 0B13130E
	v_mul_f32_e32 v138, v14, v138                              // 0000000051F8: 0B15150E
	v_mul_f32_e32 v139, v14, v139                              // 0000000051FC: 0B17170E
	v_mul_f32_dpp v136, v16, v136 row_newbcast:4 row_mask:0xf bank_mask:0xf// 000000005200: 0B1110FA FF015410
	v_mul_f32_dpp v137, v16, v137 row_newbcast:5 row_mask:0xf bank_mask:0xf// 000000005208: 0B1312FA FF015510
	v_mul_f32_dpp v138, v16, v138 row_newbcast:6 row_mask:0xf bank_mask:0xf// 000000005210: 0B1514FA FF015610
	v_mul_f32_dpp v139, v16, v139 row_newbcast:7 row_mask:0xf bank_mask:0xf// 000000005218: 0B1716FA FF015710
	v_cvt_f32_i32_e32 v140, v140                               // 000000005220: 7F180B8C
	v_cvt_f32_i32_e32 v141, v141                               // 000000005224: 7F1A0B8D
	v_cvt_f32_i32_e32 v142, v142                               // 000000005228: 7F1C0B8E
	v_cvt_f32_i32_e32 v143, v143                               // 00000000522C: 7F1E0B8F
	v_mul_f32_e32 v140, v15, v140                              // 000000005230: 0B19190F
	v_mul_f32_e32 v141, v15, v141                              // 000000005234: 0B1B1B0F
	v_mul_f32_e32 v142, v15, v142                              // 000000005238: 0B1D1D0F
	v_mul_f32_e32 v143, v15, v143                              // 00000000523C: 0B1F1F0F
	v_mul_f32_dpp v140, v16, v140 row_newbcast:4 row_mask:0xf bank_mask:0xf// 000000005240: 0B1918FA FF015410
	v_mul_f32_dpp v141, v16, v141 row_newbcast:5 row_mask:0xf bank_mask:0xf// 000000005248: 0B1B1AFA FF015510
	v_mul_f32_dpp v142, v16, v142 row_newbcast:6 row_mask:0xf bank_mask:0xf// 000000005250: 0B1D1CFA FF015610
	v_mul_f32_dpp v143, v16, v143 row_newbcast:7 row_mask:0xf bank_mask:0xf// 000000005258: 0B1F1EFA FF015710
	v_cvt_f32_i32_e32 v144, v144                               // 000000005260: 7F200B90
	v_cvt_f32_i32_e32 v145, v145                               // 000000005264: 7F220B91
	v_cvt_f32_i32_e32 v146, v146                               // 000000005268: 7F240B92
	v_cvt_f32_i32_e32 v147, v147                               // 00000000526C: 7F260B93
	v_mul_f32_e32 v144, v14, v144                              // 000000005270: 0B21210E
	v_mul_f32_e32 v145, v14, v145                              // 000000005274: 0B23230E
	v_mul_f32_e32 v146, v14, v146                              // 000000005278: 0B25250E
	v_mul_f32_e32 v147, v14, v147                              // 00000000527C: 0B27270E
	v_mul_f32_dpp v144, v16, v144 row_newbcast:8 row_mask:0xf bank_mask:0xf// 000000005280: 0B2120FA FF015810
	v_mul_f32_dpp v145, v16, v145 row_newbcast:9 row_mask:0xf bank_mask:0xf// 000000005288: 0B2322FA FF015910
	v_mul_f32_dpp v146, v16, v146 row_newbcast:10 row_mask:0xf bank_mask:0xf// 000000005290: 0B2524FA FF015A10
	v_mul_f32_dpp v147, v16, v147 row_newbcast:11 row_mask:0xf bank_mask:0xf// 000000005298: 0B2726FA FF015B10
	v_cvt_f32_i32_e32 v148, v148                               // 0000000052A0: 7F280B94
	v_cvt_f32_i32_e32 v149, v149                               // 0000000052A4: 7F2A0B95
	v_cvt_f32_i32_e32 v150, v150                               // 0000000052A8: 7F2C0B96
	v_cvt_f32_i32_e32 v151, v151                               // 0000000052AC: 7F2E0B97
	v_mul_f32_e32 v148, v15, v148                              // 0000000052B0: 0B29290F
	v_mul_f32_e32 v149, v15, v149                              // 0000000052B4: 0B2B2B0F
	v_mul_f32_e32 v150, v15, v150                              // 0000000052B8: 0B2D2D0F
	v_mul_f32_e32 v151, v15, v151                              // 0000000052BC: 0B2F2F0F
	v_mul_f32_dpp v148, v16, v148 row_newbcast:8 row_mask:0xf bank_mask:0xf// 0000000052C0: 0B2928FA FF015810
	v_mul_f32_dpp v149, v16, v149 row_newbcast:9 row_mask:0xf bank_mask:0xf// 0000000052C8: 0B2B2AFA FF015910
	v_mul_f32_dpp v150, v16, v150 row_newbcast:10 row_mask:0xf bank_mask:0xf// 0000000052D0: 0B2D2CFA FF015A10
	v_mul_f32_dpp v151, v16, v151 row_newbcast:11 row_mask:0xf bank_mask:0xf// 0000000052D8: 0B2F2EFA FF015B10
	v_cvt_f32_i32_e32 v152, v152                               // 0000000052E0: 7F300B98
	v_cvt_f32_i32_e32 v153, v153                               // 0000000052E4: 7F320B99
	v_cvt_f32_i32_e32 v154, v154                               // 0000000052E8: 7F340B9A
	v_cvt_f32_i32_e32 v155, v155                               // 0000000052EC: 7F360B9B
	v_mul_f32_e32 v152, v14, v152                              // 0000000052F0: 0B31310E
	v_mul_f32_e32 v153, v14, v153                              // 0000000052F4: 0B33330E
	v_mul_f32_e32 v154, v14, v154                              // 0000000052F8: 0B35350E
	v_mul_f32_e32 v155, v14, v155                              // 0000000052FC: 0B37370E
	v_mul_f32_dpp v152, v16, v152 row_newbcast:12 row_mask:0xf bank_mask:0xf// 000000005300: 0B3130FA FF015C10
	v_mul_f32_dpp v153, v16, v153 row_newbcast:13 row_mask:0xf bank_mask:0xf// 000000005308: 0B3332FA FF015D10
	v_mul_f32_dpp v154, v16, v154 row_newbcast:14 row_mask:0xf bank_mask:0xf// 000000005310: 0B3534FA FF015E10
	v_mul_f32_dpp v155, v16, v155 row_newbcast:15 row_mask:0xf bank_mask:0xf// 000000005318: 0B3736FA FF015F10
	v_cvt_f32_i32_e32 v156, v156                               // 000000005320: 7F380B9C
	v_cvt_f32_i32_e32 v157, v157                               // 000000005324: 7F3A0B9D
	v_cvt_f32_i32_e32 v158, v158                               // 000000005328: 7F3C0B9E
	v_cvt_f32_i32_e32 v159, v159                               // 00000000532C: 7F3E0B9F
	v_mul_f32_e32 v156, v15, v156                              // 000000005330: 0B39390F
	v_mul_f32_e32 v157, v15, v157                              // 000000005334: 0B3B3B0F
	v_mul_f32_e32 v158, v15, v158                              // 000000005338: 0B3D3D0F
	v_mul_f32_e32 v159, v15, v159                              // 00000000533C: 0B3F3F0F
	v_mul_f32_dpp v156, v16, v156 row_newbcast:12 row_mask:0xf bank_mask:0xf// 000000005340: 0B3938FA FF015C10
	v_mul_f32_dpp v157, v16, v157 row_newbcast:13 row_mask:0xf bank_mask:0xf// 000000005348: 0B3B3AFA FF015D10
	v_mul_f32_dpp v158, v16, v158 row_newbcast:14 row_mask:0xf bank_mask:0xf// 000000005350: 0B3D3CFA FF015E10
	v_mul_f32_dpp v159, v16, v159 row_newbcast:15 row_mask:0xf bank_mask:0xf// 000000005358: 0B3F3EFA FF015F10
	v_cvt_f32_i32_e32 v160, v160                               // 000000005360: 7F400BA0
	v_cvt_f32_i32_e32 v161, v161                               // 000000005364: 7F420BA1
	v_cvt_f32_i32_e32 v162, v162                               // 000000005368: 7F440BA2
	v_cvt_f32_i32_e32 v163, v163                               // 00000000536C: 7F460BA3
	v_mul_f32_e32 v160, v14, v160                              // 000000005370: 0B41410E
	v_mul_f32_e32 v161, v14, v161                              // 000000005374: 0B43430E
	v_mul_f32_e32 v162, v14, v162                              // 000000005378: 0B45450E
	v_mul_f32_e32 v163, v14, v163                              // 00000000537C: 0B47470E
	v_mul_f32_dpp v160, v17, v160 row_newbcast:0 row_mask:0xf bank_mask:0xf// 000000005380: 0B4140FA FF015011
	v_mul_f32_dpp v161, v17, v161 row_newbcast:1 row_mask:0xf bank_mask:0xf// 000000005388: 0B4342FA FF015111
	v_mul_f32_dpp v162, v17, v162 row_newbcast:2 row_mask:0xf bank_mask:0xf// 000000005390: 0B4544FA FF015211
	v_mul_f32_dpp v163, v17, v163 row_newbcast:3 row_mask:0xf bank_mask:0xf// 000000005398: 0B4746FA FF015311
	v_cvt_f32_i32_e32 v164, v164                               // 0000000053A0: 7F480BA4
	v_cvt_f32_i32_e32 v165, v165                               // 0000000053A4: 7F4A0BA5
	v_cvt_f32_i32_e32 v166, v166                               // 0000000053A8: 7F4C0BA6
	v_cvt_f32_i32_e32 v167, v167                               // 0000000053AC: 7F4E0BA7
	v_mul_f32_e32 v164, v15, v164                              // 0000000053B0: 0B49490F
	v_mul_f32_e32 v165, v15, v165                              // 0000000053B4: 0B4B4B0F
	v_mul_f32_e32 v166, v15, v166                              // 0000000053B8: 0B4D4D0F
	v_mul_f32_e32 v167, v15, v167                              // 0000000053BC: 0B4F4F0F
	v_mul_f32_dpp v164, v17, v164 row_newbcast:0 row_mask:0xf bank_mask:0xf// 0000000053C0: 0B4948FA FF015011
	v_mul_f32_dpp v165, v17, v165 row_newbcast:1 row_mask:0xf bank_mask:0xf// 0000000053C8: 0B4B4AFA FF015111
	v_mul_f32_dpp v166, v17, v166 row_newbcast:2 row_mask:0xf bank_mask:0xf// 0000000053D0: 0B4D4CFA FF015211
	v_mul_f32_dpp v167, v17, v167 row_newbcast:3 row_mask:0xf bank_mask:0xf// 0000000053D8: 0B4F4EFA FF015311
	v_cvt_f32_i32_e32 v168, v168                               // 0000000053E0: 7F500BA8
	v_cvt_f32_i32_e32 v169, v169                               // 0000000053E4: 7F520BA9
	v_cvt_f32_i32_e32 v170, v170                               // 0000000053E8: 7F540BAA
	v_cvt_f32_i32_e32 v171, v171                               // 0000000053EC: 7F560BAB
	v_mul_f32_e32 v168, v14, v168                              // 0000000053F0: 0B51510E
	v_mul_f32_e32 v169, v14, v169                              // 0000000053F4: 0B53530E
	v_mul_f32_e32 v170, v14, v170                              // 0000000053F8: 0B55550E
	v_mul_f32_e32 v171, v14, v171                              // 0000000053FC: 0B57570E
	v_mul_f32_dpp v168, v17, v168 row_newbcast:4 row_mask:0xf bank_mask:0xf// 000000005400: 0B5150FA FF015411
	v_mul_f32_dpp v169, v17, v169 row_newbcast:5 row_mask:0xf bank_mask:0xf// 000000005408: 0B5352FA FF015511
	v_mul_f32_dpp v170, v17, v170 row_newbcast:6 row_mask:0xf bank_mask:0xf// 000000005410: 0B5554FA FF015611
	v_mul_f32_dpp v171, v17, v171 row_newbcast:7 row_mask:0xf bank_mask:0xf// 000000005418: 0B5756FA FF015711
	v_cvt_f32_i32_e32 v172, v172                               // 000000005420: 7F580BAC
	v_cvt_f32_i32_e32 v173, v173                               // 000000005424: 7F5A0BAD
	v_cvt_f32_i32_e32 v174, v174                               // 000000005428: 7F5C0BAE
	v_cvt_f32_i32_e32 v175, v175                               // 00000000542C: 7F5E0BAF
	v_mul_f32_e32 v172, v15, v172                              // 000000005430: 0B59590F
	v_mul_f32_e32 v173, v15, v173                              // 000000005434: 0B5B5B0F
	v_mul_f32_e32 v174, v15, v174                              // 000000005438: 0B5D5D0F
	v_mul_f32_e32 v175, v15, v175                              // 00000000543C: 0B5F5F0F
	v_mul_f32_dpp v172, v17, v172 row_newbcast:4 row_mask:0xf bank_mask:0xf// 000000005440: 0B5958FA FF015411
	v_mul_f32_dpp v173, v17, v173 row_newbcast:5 row_mask:0xf bank_mask:0xf// 000000005448: 0B5B5AFA FF015511
	v_mul_f32_dpp v174, v17, v174 row_newbcast:6 row_mask:0xf bank_mask:0xf// 000000005450: 0B5D5CFA FF015611
	v_mul_f32_dpp v175, v17, v175 row_newbcast:7 row_mask:0xf bank_mask:0xf// 000000005458: 0B5F5EFA FF015711
	v_cvt_f32_i32_e32 v176, v176                               // 000000005460: 7F600BB0
	v_cvt_f32_i32_e32 v177, v177                               // 000000005464: 7F620BB1
	v_cvt_f32_i32_e32 v178, v178                               // 000000005468: 7F640BB2
	v_cvt_f32_i32_e32 v179, v179                               // 00000000546C: 7F660BB3
	v_mul_f32_e32 v176, v14, v176                              // 000000005470: 0B61610E
	v_mul_f32_e32 v177, v14, v177                              // 000000005474: 0B63630E
	v_mul_f32_e32 v178, v14, v178                              // 000000005478: 0B65650E
	v_mul_f32_e32 v179, v14, v179                              // 00000000547C: 0B67670E
	v_mul_f32_dpp v176, v17, v176 row_newbcast:8 row_mask:0xf bank_mask:0xf// 000000005480: 0B6160FA FF015811
	v_mul_f32_dpp v177, v17, v177 row_newbcast:9 row_mask:0xf bank_mask:0xf// 000000005488: 0B6362FA FF015911
	v_mul_f32_dpp v178, v17, v178 row_newbcast:10 row_mask:0xf bank_mask:0xf// 000000005490: 0B6564FA FF015A11
	v_mul_f32_dpp v179, v17, v179 row_newbcast:11 row_mask:0xf bank_mask:0xf// 000000005498: 0B6766FA FF015B11
	v_cvt_f32_i32_e32 v180, v180                               // 0000000054A0: 7F680BB4
	v_cvt_f32_i32_e32 v181, v181                               // 0000000054A4: 7F6A0BB5
	v_cvt_f32_i32_e32 v182, v182                               // 0000000054A8: 7F6C0BB6
	v_cvt_f32_i32_e32 v183, v183                               // 0000000054AC: 7F6E0BB7
	v_mul_f32_e32 v180, v15, v180                              // 0000000054B0: 0B69690F
	v_mul_f32_e32 v181, v15, v181                              // 0000000054B4: 0B6B6B0F
	v_mul_f32_e32 v182, v15, v182                              // 0000000054B8: 0B6D6D0F
	v_mul_f32_e32 v183, v15, v183                              // 0000000054BC: 0B6F6F0F
	v_mul_f32_dpp v180, v17, v180 row_newbcast:8 row_mask:0xf bank_mask:0xf// 0000000054C0: 0B6968FA FF015811
	v_mul_f32_dpp v181, v17, v181 row_newbcast:9 row_mask:0xf bank_mask:0xf// 0000000054C8: 0B6B6AFA FF015911
	v_mul_f32_dpp v182, v17, v182 row_newbcast:10 row_mask:0xf bank_mask:0xf// 0000000054D0: 0B6D6CFA FF015A11
	v_mul_f32_dpp v183, v17, v183 row_newbcast:11 row_mask:0xf bank_mask:0xf// 0000000054D8: 0B6F6EFA FF015B11
	v_cvt_f32_i32_e32 v184, v184                               // 0000000054E0: 7F700BB8
	v_cvt_f32_i32_e32 v185, v185                               // 0000000054E4: 7F720BB9
	v_cvt_f32_i32_e32 v186, v186                               // 0000000054E8: 7F740BBA
	v_cvt_f32_i32_e32 v187, v187                               // 0000000054EC: 7F760BBB
	v_mul_f32_e32 v184, v14, v184                              // 0000000054F0: 0B71710E
	v_mul_f32_e32 v185, v14, v185                              // 0000000054F4: 0B73730E
	v_mul_f32_e32 v186, v14, v186                              // 0000000054F8: 0B75750E
	v_mul_f32_e32 v187, v14, v187                              // 0000000054FC: 0B77770E
	v_mul_f32_dpp v184, v17, v184 row_newbcast:12 row_mask:0xf bank_mask:0xf// 000000005500: 0B7170FA FF015C11
	v_mul_f32_dpp v185, v17, v185 row_newbcast:13 row_mask:0xf bank_mask:0xf// 000000005508: 0B7372FA FF015D11
	v_mul_f32_dpp v186, v17, v186 row_newbcast:14 row_mask:0xf bank_mask:0xf// 000000005510: 0B7574FA FF015E11
	v_mul_f32_dpp v187, v17, v187 row_newbcast:15 row_mask:0xf bank_mask:0xf// 000000005518: 0B7776FA FF015F11
	v_cvt_f32_i32_e32 v188, v188                               // 000000005520: 7F780BBC
	v_cvt_f32_i32_e32 v189, v189                               // 000000005524: 7F7A0BBD
	v_cvt_f32_i32_e32 v190, v190                               // 000000005528: 7F7C0BBE
	v_cvt_f32_i32_e32 v191, v191                               // 00000000552C: 7F7E0BBF
	v_mul_f32_e32 v188, v15, v188                              // 000000005530: 0B79790F
	v_mul_f32_e32 v189, v15, v189                              // 000000005534: 0B7B7B0F
	v_mul_f32_e32 v190, v15, v190                              // 000000005538: 0B7D7D0F
	v_mul_f32_e32 v191, v15, v191                              // 00000000553C: 0B7F7F0F
	v_mul_f32_dpp v188, v17, v188 row_newbcast:12 row_mask:0xf bank_mask:0xf// 000000005540: 0B7978FA FF015C11
	v_mul_f32_dpp v189, v17, v189 row_newbcast:13 row_mask:0xf bank_mask:0xf// 000000005548: 0B7B7AFA FF015D11
	v_mul_f32_dpp v190, v17, v190 row_newbcast:14 row_mask:0xf bank_mask:0xf// 000000005550: 0B7D7CFA FF015E11
	v_mul_f32_dpp v191, v17, v191 row_newbcast:15 row_mask:0xf bank_mask:0xf// 000000005558: 0B7F7EFA FF015F11
	v_cvt_f32_i32_e32 v64, v64                                 // 000000005560: 7E800B40
	v_cvt_f32_i32_e32 v65, v65                                 // 000000005564: 7E820B41
	v_cvt_f32_i32_e32 v66, v66                                 // 000000005568: 7E840B42
	v_cvt_f32_i32_e32 v67, v67                                 // 00000000556C: 7E860B43
	v_mul_f32_e32 v64, v14, v64                                // 000000005570: 0A80810E
	v_mul_f32_e32 v65, v14, v65                                // 000000005574: 0A82830E
	v_mul_f32_e32 v66, v14, v66                                // 000000005578: 0A84850E
	v_mul_f32_e32 v67, v14, v67                                // 00000000557C: 0A86870E
	v_mul_f32_dpp v64, v50, v64 row_newbcast:0 row_mask:0xf bank_mask:0xf// 000000005580: 0A8080FA FF015032
	v_mul_f32_dpp v65, v50, v65 row_newbcast:1 row_mask:0xf bank_mask:0xf// 000000005588: 0A8282FA FF015132
	v_mul_f32_dpp v66, v50, v66 row_newbcast:2 row_mask:0xf bank_mask:0xf// 000000005590: 0A8484FA FF015232
	v_mul_f32_dpp v67, v50, v67 row_newbcast:3 row_mask:0xf bank_mask:0xf// 000000005598: 0A8686FA FF015332
	v_cvt_f32_i32_e32 v68, v68                                 // 0000000055A0: 7E880B44
	v_cvt_f32_i32_e32 v69, v69                                 // 0000000055A4: 7E8A0B45
	v_cvt_f32_i32_e32 v70, v70                                 // 0000000055A8: 7E8C0B46
	v_cvt_f32_i32_e32 v71, v71                                 // 0000000055AC: 7E8E0B47
	v_mul_f32_e32 v68, v15, v68                                // 0000000055B0: 0A88890F
	v_mul_f32_e32 v69, v15, v69                                // 0000000055B4: 0A8A8B0F
	v_mul_f32_e32 v70, v15, v70                                // 0000000055B8: 0A8C8D0F
	v_mul_f32_e32 v71, v15, v71                                // 0000000055BC: 0A8E8F0F
	v_mul_f32_dpp v68, v50, v68 row_newbcast:0 row_mask:0xf bank_mask:0xf// 0000000055C0: 0A8888FA FF015032
	v_mul_f32_dpp v69, v50, v69 row_newbcast:1 row_mask:0xf bank_mask:0xf// 0000000055C8: 0A8A8AFA FF015132
	v_mul_f32_dpp v70, v50, v70 row_newbcast:2 row_mask:0xf bank_mask:0xf// 0000000055D0: 0A8C8CFA FF015232
	v_mul_f32_dpp v71, v50, v71 row_newbcast:3 row_mask:0xf bank_mask:0xf// 0000000055D8: 0A8E8EFA FF015332
	v_cvt_f32_i32_e32 v72, v72                                 // 0000000055E0: 7E900B48
	v_cvt_f32_i32_e32 v73, v73                                 // 0000000055E4: 7E920B49
	v_cvt_f32_i32_e32 v74, v74                                 // 0000000055E8: 7E940B4A
	v_cvt_f32_i32_e32 v75, v75                                 // 0000000055EC: 7E960B4B
	v_mul_f32_e32 v72, v14, v72                                // 0000000055F0: 0A90910E
	v_mul_f32_e32 v73, v14, v73                                // 0000000055F4: 0A92930E
	v_mul_f32_e32 v74, v14, v74                                // 0000000055F8: 0A94950E
	v_mul_f32_e32 v75, v14, v75                                // 0000000055FC: 0A96970E
	v_mul_f32_dpp v72, v50, v72 row_newbcast:4 row_mask:0xf bank_mask:0xf// 000000005600: 0A9090FA FF015432
	v_mul_f32_dpp v73, v50, v73 row_newbcast:5 row_mask:0xf bank_mask:0xf// 000000005608: 0A9292FA FF015532
	v_mul_f32_dpp v74, v50, v74 row_newbcast:6 row_mask:0xf bank_mask:0xf// 000000005610: 0A9494FA FF015632
	v_mul_f32_dpp v75, v50, v75 row_newbcast:7 row_mask:0xf bank_mask:0xf// 000000005618: 0A9696FA FF015732
	v_cvt_f32_i32_e32 v76, v76                                 // 000000005620: 7E980B4C
	v_cvt_f32_i32_e32 v77, v77                                 // 000000005624: 7E9A0B4D
	v_cvt_f32_i32_e32 v78, v78                                 // 000000005628: 7E9C0B4E
	v_cvt_f32_i32_e32 v79, v79                                 // 00000000562C: 7E9E0B4F
	v_mul_f32_e32 v76, v15, v76                                // 000000005630: 0A98990F
	v_mul_f32_e32 v77, v15, v77                                // 000000005634: 0A9A9B0F
	v_mul_f32_e32 v78, v15, v78                                // 000000005638: 0A9C9D0F
	v_mul_f32_e32 v79, v15, v79                                // 00000000563C: 0A9E9F0F
	v_mul_f32_dpp v76, v50, v76 row_newbcast:4 row_mask:0xf bank_mask:0xf// 000000005640: 0A9898FA FF015432
	v_mul_f32_dpp v77, v50, v77 row_newbcast:5 row_mask:0xf bank_mask:0xf// 000000005648: 0A9A9AFA FF015532
	v_mul_f32_dpp v78, v50, v78 row_newbcast:6 row_mask:0xf bank_mask:0xf// 000000005650: 0A9C9CFA FF015632
	v_mul_f32_dpp v79, v50, v79 row_newbcast:7 row_mask:0xf bank_mask:0xf// 000000005658: 0A9E9EFA FF015732
	v_cvt_f32_i32_e32 v80, v80                                 // 000000005660: 7EA00B50
	v_cvt_f32_i32_e32 v81, v81                                 // 000000005664: 7EA20B51
	v_cvt_f32_i32_e32 v82, v82                                 // 000000005668: 7EA40B52
	v_cvt_f32_i32_e32 v83, v83                                 // 00000000566C: 7EA60B53
	v_mul_f32_e32 v80, v14, v80                                // 000000005670: 0AA0A10E
	v_mul_f32_e32 v81, v14, v81                                // 000000005674: 0AA2A30E
	v_mul_f32_e32 v82, v14, v82                                // 000000005678: 0AA4A50E
	v_mul_f32_e32 v83, v14, v83                                // 00000000567C: 0AA6A70E
	v_mul_f32_dpp v80, v50, v80 row_newbcast:8 row_mask:0xf bank_mask:0xf// 000000005680: 0AA0A0FA FF015832
	v_mul_f32_dpp v81, v50, v81 row_newbcast:9 row_mask:0xf bank_mask:0xf// 000000005688: 0AA2A2FA FF015932
	v_mul_f32_dpp v82, v50, v82 row_newbcast:10 row_mask:0xf bank_mask:0xf// 000000005690: 0AA4A4FA FF015A32
	v_mul_f32_dpp v83, v50, v83 row_newbcast:11 row_mask:0xf bank_mask:0xf// 000000005698: 0AA6A6FA FF015B32
	v_cvt_f32_i32_e32 v84, v84                                 // 0000000056A0: 7EA80B54
	v_cvt_f32_i32_e32 v85, v85                                 // 0000000056A4: 7EAA0B55
	v_cvt_f32_i32_e32 v86, v86                                 // 0000000056A8: 7EAC0B56
	v_cvt_f32_i32_e32 v87, v87                                 // 0000000056AC: 7EAE0B57
	v_mul_f32_e32 v84, v15, v84                                // 0000000056B0: 0AA8A90F
	v_mul_f32_e32 v85, v15, v85                                // 0000000056B4: 0AAAAB0F
	v_mul_f32_e32 v86, v15, v86                                // 0000000056B8: 0AACAD0F
	v_mul_f32_e32 v87, v15, v87                                // 0000000056BC: 0AAEAF0F
	v_mul_f32_dpp v84, v50, v84 row_newbcast:8 row_mask:0xf bank_mask:0xf// 0000000056C0: 0AA8A8FA FF015832
	v_mul_f32_dpp v85, v50, v85 row_newbcast:9 row_mask:0xf bank_mask:0xf// 0000000056C8: 0AAAAAFA FF015932
	v_mul_f32_dpp v86, v50, v86 row_newbcast:10 row_mask:0xf bank_mask:0xf// 0000000056D0: 0AACACFA FF015A32
	v_mul_f32_dpp v87, v50, v87 row_newbcast:11 row_mask:0xf bank_mask:0xf// 0000000056D8: 0AAEAEFA FF015B32
	v_cvt_f32_i32_e32 v88, v88                                 // 0000000056E0: 7EB00B58
	v_cvt_f32_i32_e32 v89, v89                                 // 0000000056E4: 7EB20B59
	v_cvt_f32_i32_e32 v90, v90                                 // 0000000056E8: 7EB40B5A
	v_cvt_f32_i32_e32 v91, v91                                 // 0000000056EC: 7EB60B5B
	v_mul_f32_e32 v88, v14, v88                                // 0000000056F0: 0AB0B10E
	v_mul_f32_e32 v89, v14, v89                                // 0000000056F4: 0AB2B30E
	v_mul_f32_e32 v90, v14, v90                                // 0000000056F8: 0AB4B50E
	v_mul_f32_e32 v91, v14, v91                                // 0000000056FC: 0AB6B70E
	v_mul_f32_dpp v88, v50, v88 row_newbcast:12 row_mask:0xf bank_mask:0xf// 000000005700: 0AB0B0FA FF015C32
	v_mul_f32_dpp v89, v50, v89 row_newbcast:13 row_mask:0xf bank_mask:0xf// 000000005708: 0AB2B2FA FF015D32
	v_mul_f32_dpp v90, v50, v90 row_newbcast:14 row_mask:0xf bank_mask:0xf// 000000005710: 0AB4B4FA FF015E32
	v_mul_f32_dpp v91, v50, v91 row_newbcast:15 row_mask:0xf bank_mask:0xf// 000000005718: 0AB6B6FA FF015F32
	v_cvt_f32_i32_e32 v92, v92                                 // 000000005720: 7EB80B5C
	v_cvt_f32_i32_e32 v93, v93                                 // 000000005724: 7EBA0B5D
	v_cvt_f32_i32_e32 v94, v94                                 // 000000005728: 7EBC0B5E
	v_cvt_f32_i32_e32 v95, v95                                 // 00000000572C: 7EBE0B5F
	v_mul_f32_e32 v92, v15, v92                                // 000000005730: 0AB8B90F
	v_mul_f32_e32 v93, v15, v93                                // 000000005734: 0ABABB0F
	v_mul_f32_e32 v94, v15, v94                                // 000000005738: 0ABCBD0F
	v_mul_f32_e32 v95, v15, v95                                // 00000000573C: 0ABEBF0F
	v_mul_f32_dpp v92, v50, v92 row_newbcast:12 row_mask:0xf bank_mask:0xf// 000000005740: 0AB8B8FA FF015C32
	v_mul_f32_dpp v93, v50, v93 row_newbcast:13 row_mask:0xf bank_mask:0xf// 000000005748: 0ABABAFA FF015D32
	v_mul_f32_dpp v94, v50, v94 row_newbcast:14 row_mask:0xf bank_mask:0xf// 000000005750: 0ABCBCFA FF015E32
	v_mul_f32_dpp v95, v50, v95 row_newbcast:15 row_mask:0xf bank_mask:0xf// 000000005758: 0ABEBEFA FF015F32
	v_cvt_f32_i32_e32 v96, v96                                 // 000000005760: 7EC00B60
	v_cvt_f32_i32_e32 v97, v97                                 // 000000005764: 7EC20B61
	v_cvt_f32_i32_e32 v98, v98                                 // 000000005768: 7EC40B62
	v_cvt_f32_i32_e32 v99, v99                                 // 00000000576C: 7EC60B63
	v_mul_f32_e32 v96, v14, v96                                // 000000005770: 0AC0C10E
	v_mul_f32_e32 v97, v14, v97                                // 000000005774: 0AC2C30E
	v_mul_f32_e32 v98, v14, v98                                // 000000005778: 0AC4C50E
	v_mul_f32_e32 v99, v14, v99                                // 00000000577C: 0AC6C70E
	v_mul_f32_dpp v96, v51, v96 row_newbcast:0 row_mask:0xf bank_mask:0xf// 000000005780: 0AC0C0FA FF015033
	v_mul_f32_dpp v97, v51, v97 row_newbcast:1 row_mask:0xf bank_mask:0xf// 000000005788: 0AC2C2FA FF015133
	v_mul_f32_dpp v98, v51, v98 row_newbcast:2 row_mask:0xf bank_mask:0xf// 000000005790: 0AC4C4FA FF015233
	v_mul_f32_dpp v99, v51, v99 row_newbcast:3 row_mask:0xf bank_mask:0xf// 000000005798: 0AC6C6FA FF015333
	v_cvt_f32_i32_e32 v100, v100                               // 0000000057A0: 7EC80B64
	v_cvt_f32_i32_e32 v101, v101                               // 0000000057A4: 7ECA0B65
	v_cvt_f32_i32_e32 v102, v102                               // 0000000057A8: 7ECC0B66
	v_cvt_f32_i32_e32 v103, v103                               // 0000000057AC: 7ECE0B67
	v_mul_f32_e32 v100, v15, v100                              // 0000000057B0: 0AC8C90F
	v_mul_f32_e32 v101, v15, v101                              // 0000000057B4: 0ACACB0F
	v_mul_f32_e32 v102, v15, v102                              // 0000000057B8: 0ACCCD0F
	v_mul_f32_e32 v103, v15, v103                              // 0000000057BC: 0ACECF0F
	v_mul_f32_dpp v100, v51, v100 row_newbcast:0 row_mask:0xf bank_mask:0xf// 0000000057C0: 0AC8C8FA FF015033
	v_mul_f32_dpp v101, v51, v101 row_newbcast:1 row_mask:0xf bank_mask:0xf// 0000000057C8: 0ACACAFA FF015133
	v_mul_f32_dpp v102, v51, v102 row_newbcast:2 row_mask:0xf bank_mask:0xf// 0000000057D0: 0ACCCCFA FF015233
	v_mul_f32_dpp v103, v51, v103 row_newbcast:3 row_mask:0xf bank_mask:0xf// 0000000057D8: 0ACECEFA FF015333
	v_cvt_f32_i32_e32 v104, v104                               // 0000000057E0: 7ED00B68
	v_cvt_f32_i32_e32 v105, v105                               // 0000000057E4: 7ED20B69
	v_cvt_f32_i32_e32 v106, v106                               // 0000000057E8: 7ED40B6A
	v_cvt_f32_i32_e32 v107, v107                               // 0000000057EC: 7ED60B6B
	v_mul_f32_e32 v104, v14, v104                              // 0000000057F0: 0AD0D10E
	v_mul_f32_e32 v105, v14, v105                              // 0000000057F4: 0AD2D30E
	v_mul_f32_e32 v106, v14, v106                              // 0000000057F8: 0AD4D50E
	v_mul_f32_e32 v107, v14, v107                              // 0000000057FC: 0AD6D70E
	v_mul_f32_dpp v104, v51, v104 row_newbcast:4 row_mask:0xf bank_mask:0xf// 000000005800: 0AD0D0FA FF015433
	v_mul_f32_dpp v105, v51, v105 row_newbcast:5 row_mask:0xf bank_mask:0xf// 000000005808: 0AD2D2FA FF015533
	v_mul_f32_dpp v106, v51, v106 row_newbcast:6 row_mask:0xf bank_mask:0xf// 000000005810: 0AD4D4FA FF015633
	v_mul_f32_dpp v107, v51, v107 row_newbcast:7 row_mask:0xf bank_mask:0xf// 000000005818: 0AD6D6FA FF015733
	v_cvt_f32_i32_e32 v108, v108                               // 000000005820: 7ED80B6C
	v_cvt_f32_i32_e32 v109, v109                               // 000000005824: 7EDA0B6D
	v_cvt_f32_i32_e32 v110, v110                               // 000000005828: 7EDC0B6E
	v_cvt_f32_i32_e32 v111, v111                               // 00000000582C: 7EDE0B6F
	v_mul_f32_e32 v108, v15, v108                              // 000000005830: 0AD8D90F
	v_mul_f32_e32 v109, v15, v109                              // 000000005834: 0ADADB0F
	v_mul_f32_e32 v110, v15, v110                              // 000000005838: 0ADCDD0F
	v_mul_f32_e32 v111, v15, v111                              // 00000000583C: 0ADEDF0F
	v_mul_f32_dpp v108, v51, v108 row_newbcast:4 row_mask:0xf bank_mask:0xf// 000000005840: 0AD8D8FA FF015433
	v_mul_f32_dpp v109, v51, v109 row_newbcast:5 row_mask:0xf bank_mask:0xf// 000000005848: 0ADADAFA FF015533
	v_mul_f32_dpp v110, v51, v110 row_newbcast:6 row_mask:0xf bank_mask:0xf// 000000005850: 0ADCDCFA FF015633
	v_mul_f32_dpp v111, v51, v111 row_newbcast:7 row_mask:0xf bank_mask:0xf// 000000005858: 0ADEDEFA FF015733
	v_cvt_f32_i32_e32 v112, v112                               // 000000005860: 7EE00B70
	v_cvt_f32_i32_e32 v113, v113                               // 000000005864: 7EE20B71
	v_cvt_f32_i32_e32 v114, v114                               // 000000005868: 7EE40B72
	v_cvt_f32_i32_e32 v115, v115                               // 00000000586C: 7EE60B73
	v_mul_f32_e32 v112, v14, v112                              // 000000005870: 0AE0E10E
	v_mul_f32_e32 v113, v14, v113                              // 000000005874: 0AE2E30E
	v_mul_f32_e32 v114, v14, v114                              // 000000005878: 0AE4E50E
	v_mul_f32_e32 v115, v14, v115                              // 00000000587C: 0AE6E70E
	v_mul_f32_dpp v112, v51, v112 row_newbcast:8 row_mask:0xf bank_mask:0xf// 000000005880: 0AE0E0FA FF015833
	v_mul_f32_dpp v113, v51, v113 row_newbcast:9 row_mask:0xf bank_mask:0xf// 000000005888: 0AE2E2FA FF015933
	v_mul_f32_dpp v114, v51, v114 row_newbcast:10 row_mask:0xf bank_mask:0xf// 000000005890: 0AE4E4FA FF015A33
	v_mul_f32_dpp v115, v51, v115 row_newbcast:11 row_mask:0xf bank_mask:0xf// 000000005898: 0AE6E6FA FF015B33
	v_cvt_f32_i32_e32 v116, v116                               // 0000000058A0: 7EE80B74
	v_cvt_f32_i32_e32 v117, v117                               // 0000000058A4: 7EEA0B75
	v_cvt_f32_i32_e32 v118, v118                               // 0000000058A8: 7EEC0B76
	v_cvt_f32_i32_e32 v119, v119                               // 0000000058AC: 7EEE0B77
	v_mul_f32_e32 v116, v15, v116                              // 0000000058B0: 0AE8E90F
	v_mul_f32_e32 v117, v15, v117                              // 0000000058B4: 0AEAEB0F
	v_mul_f32_e32 v118, v15, v118                              // 0000000058B8: 0AECED0F
	v_mul_f32_e32 v119, v15, v119                              // 0000000058BC: 0AEEEF0F
	v_mul_f32_dpp v116, v51, v116 row_newbcast:8 row_mask:0xf bank_mask:0xf// 0000000058C0: 0AE8E8FA FF015833
	v_mul_f32_dpp v117, v51, v117 row_newbcast:9 row_mask:0xf bank_mask:0xf// 0000000058C8: 0AEAEAFA FF015933
	v_mul_f32_dpp v118, v51, v118 row_newbcast:10 row_mask:0xf bank_mask:0xf// 0000000058D0: 0AECECFA FF015A33
	v_mul_f32_dpp v119, v51, v119 row_newbcast:11 row_mask:0xf bank_mask:0xf// 0000000058D8: 0AEEEEFA FF015B33
	v_cvt_f32_i32_e32 v120, v120                               // 0000000058E0: 7EF00B78
	v_cvt_f32_i32_e32 v121, v121                               // 0000000058E4: 7EF20B79
	v_cvt_f32_i32_e32 v122, v122                               // 0000000058E8: 7EF40B7A
	v_cvt_f32_i32_e32 v123, v123                               // 0000000058EC: 7EF60B7B
	v_mul_f32_e32 v120, v14, v120                              // 0000000058F0: 0AF0F10E
	v_mul_f32_e32 v121, v14, v121                              // 0000000058F4: 0AF2F30E
	v_mul_f32_e32 v122, v14, v122                              // 0000000058F8: 0AF4F50E
	v_mul_f32_e32 v123, v14, v123                              // 0000000058FC: 0AF6F70E
	v_mul_f32_dpp v120, v51, v120 row_newbcast:12 row_mask:0xf bank_mask:0xf// 000000005900: 0AF0F0FA FF015C33
	v_mul_f32_dpp v121, v51, v121 row_newbcast:13 row_mask:0xf bank_mask:0xf// 000000005908: 0AF2F2FA FF015D33
	v_mul_f32_dpp v122, v51, v122 row_newbcast:14 row_mask:0xf bank_mask:0xf// 000000005910: 0AF4F4FA FF015E33
	v_mul_f32_dpp v123, v51, v123 row_newbcast:15 row_mask:0xf bank_mask:0xf// 000000005918: 0AF6F6FA FF015F33
	v_cvt_f32_i32_e32 v124, v124                               // 000000005920: 7EF80B7C
	v_cvt_f32_i32_e32 v125, v125                               // 000000005924: 7EFA0B7D
	v_cvt_f32_i32_e32 v126, v126                               // 000000005928: 7EFC0B7E
	v_cvt_f32_i32_e32 v127, v127                               // 00000000592C: 7EFE0B7F
	v_mul_f32_e32 v124, v15, v124                              // 000000005930: 0AF8F90F
	v_mul_f32_e32 v125, v15, v125                              // 000000005934: 0AFAFB0F
	v_mul_f32_e32 v126, v15, v126                              // 000000005938: 0AFCFD0F
	v_mul_f32_e32 v127, v15, v127                              // 00000000593C: 0AFEFF0F
	v_mul_f32_dpp v124, v51, v124 row_newbcast:12 row_mask:0xf bank_mask:0xf// 000000005940: 0AF8F8FA FF015C33
	v_mul_f32_dpp v125, v51, v125 row_newbcast:13 row_mask:0xf bank_mask:0xf// 000000005948: 0AFAFAFA FF015D33
	v_mul_f32_dpp v126, v51, v126 row_newbcast:14 row_mask:0xf bank_mask:0xf// 000000005950: 0AFCFCFA FF015E33
	v_mul_f32_dpp v127, v51, v127 row_newbcast:15 row_mask:0xf bank_mask:0xf// 000000005958: 0AFEFEFA FF015F33
	s_waitcnt vmcnt(28)                                        // 000000005960: BF8C4F7C
	buffer_load_dwordx4 a[0:3], v42, s[12:15], 0 offen         // 000000005964: E05C1000 8083002A
	v_mul_f32_e32 v52, v128, v128                              // 00000000596C: 0A690180
	v_mul_f32_e32 v53, v129, v129                              // 000000005970: 0A6B0381
	v_mul_f32_e32 v54, v130, v130                              // 000000005974: 0A6D0582
	v_mul_f32_e32 v55, v131, v131                              // 000000005978: 0A6F0783
	v_fma_f32 v52, v52, s77, v1                                // 00000000597C: D1CB0034 04049B34
	v_fma_f32 v53, v53, s77, v1                                // 000000005984: D1CB0035 04049B35
	v_fma_f32 v54, v54, s77, v1                                // 00000000598C: D1CB0036 04049B36
	v_fma_f32 v55, v55, s77, v1                                // 000000005994: D1CB0037 04049B37
	v_mul_f32_e32 v52, v52, v128                               // 00000000599C: 0A690134
	v_mul_f32_e32 v53, v53, v129                               // 0000000059A0: 0A6B0335
	v_mul_f32_e32 v54, v54, v130                               // 0000000059A4: 0A6D0536
	v_mul_f32_e32 v55, v55, v131                               // 0000000059A8: 0A6F0737
	v_mul_f32_e64 v52, v52, s6                                 // 0000000059AC: D1050034 00000D34
	v_mul_f32_e64 v53, v53, s6                                 // 0000000059B4: D1050035 00000D35
	v_mul_f32_e64 v54, v54, s6                                 // 0000000059BC: D1050036 00000D36
	v_mul_f32_e64 v55, v55, s6                                 // 0000000059C4: D1050037 00000D37
	v_exp_f32_e32 v52, v52                                     // 0000000059CC: 7E684134
	v_exp_f32_e32 v53, v53                                     // 0000000059D0: 7E6A4135
	v_exp_f32_e32 v54, v54                                     // 0000000059D4: 7E6C4136
	v_exp_f32_e32 v55, v55                                     // 0000000059D8: 7E6E4137
	buffer_load_dwordx4 a[4:7], v43, s[12:15], 0 offen         // 0000000059DC: E05C1000 8083042B
	v_add_f32_e64 v52, v52, 1.0                                // 0000000059E4: D1010034 0001E534
	v_add_f32_e64 v53, v53, 1.0                                // 0000000059EC: D1010035 0001E535
	v_add_f32_e64 v54, v54, 1.0                                // 0000000059F4: D1010036 0001E536
	v_add_f32_e64 v55, v55, 1.0                                // 0000000059FC: D1010037 0001E537
	v_rcp_f32_e32 v52, v52                                     // 000000005A04: 7E684534
	v_rcp_f32_e32 v53, v53                                     // 000000005A08: 7E6A4535
	v_rcp_f32_e32 v54, v54                                     // 000000005A0C: 7E6C4536
	v_rcp_f32_e32 v55, v55                                     // 000000005A10: 7E6E4537
	v_mul_f32_e32 v128, v128, v52                              // 000000005A14: 0B006980
	v_mul_f32_e32 v129, v129, v53                              // 000000005A18: 0B026B81
	v_mul_f32_e32 v130, v130, v54                              // 000000005A1C: 0B046D82
	v_mul_f32_e32 v131, v131, v55                              // 000000005A20: 0B066F83
	v_mul_f32_e32 v128, v128, v64                              // 000000005A24: 0B008180
	v_mul_f32_e32 v129, v129, v65                              // 000000005A28: 0B028381
	v_mul_f32_e32 v130, v130, v66                              // 000000005A2C: 0B048582
	v_mul_f32_e32 v131, v131, v67                              // 000000005A30: 0B068783
	buffer_load_dwordx4 a[8:11], v44, s[12:15], 0 offen        // 000000005A34: E05C1000 8083082C
	v_mul_f32_e32 v52, v132, v132                              // 000000005A3C: 0A690984
	v_mul_f32_e32 v53, v133, v133                              // 000000005A40: 0A6B0B85
	v_mul_f32_e32 v54, v134, v134                              // 000000005A44: 0A6D0D86
	v_mul_f32_e32 v55, v135, v135                              // 000000005A48: 0A6F0F87
	v_fma_f32 v52, v52, s77, v1                                // 000000005A4C: D1CB0034 04049B34
	v_fma_f32 v53, v53, s77, v1                                // 000000005A54: D1CB0035 04049B35
	v_fma_f32 v54, v54, s77, v1                                // 000000005A5C: D1CB0036 04049B36
	v_fma_f32 v55, v55, s77, v1                                // 000000005A64: D1CB0037 04049B37
	v_mul_f32_e32 v52, v52, v132                               // 000000005A6C: 0A690934
	v_mul_f32_e32 v53, v53, v133                               // 000000005A70: 0A6B0B35
	v_mul_f32_e32 v54, v54, v134                               // 000000005A74: 0A6D0D36
	v_mul_f32_e32 v55, v55, v135                               // 000000005A78: 0A6F0F37
	v_mul_f32_e64 v52, v52, s6                                 // 000000005A7C: D1050034 00000D34
	v_mul_f32_e64 v53, v53, s6                                 // 000000005A84: D1050035 00000D35
	v_mul_f32_e64 v54, v54, s6                                 // 000000005A8C: D1050036 00000D36
	v_mul_f32_e64 v55, v55, s6                                 // 000000005A94: D1050037 00000D37
	v_exp_f32_e32 v52, v52                                     // 000000005A9C: 7E684134
	v_exp_f32_e32 v53, v53                                     // 000000005AA0: 7E6A4135
	v_exp_f32_e32 v54, v54                                     // 000000005AA4: 7E6C4136
	v_exp_f32_e32 v55, v55                                     // 000000005AA8: 7E6E4137
	buffer_load_dwordx4 a[12:15], v45, s[12:15], 0 offen       // 000000005AAC: E05C1000 80830C2D
	s_add_u32 s12, s78, s12                                    // 000000005AB4: 800C0C4E
	s_addc_u32 s13, 0, s13                                     // 000000005AB8: 820D0D80
	v_add_f32_e64 v52, v52, 1.0                                // 000000005ABC: D1010034 0001E534
	v_add_f32_e64 v53, v53, 1.0                                // 000000005AC4: D1010035 0001E535
	v_add_f32_e64 v54, v54, 1.0                                // 000000005ACC: D1010036 0001E536
	v_add_f32_e64 v55, v55, 1.0                                // 000000005AD4: D1010037 0001E537
	v_rcp_f32_e32 v52, v52                                     // 000000005ADC: 7E684534
	v_rcp_f32_e32 v53, v53                                     // 000000005AE0: 7E6A4535
	v_rcp_f32_e32 v54, v54                                     // 000000005AE4: 7E6C4536
	v_rcp_f32_e32 v55, v55                                     // 000000005AE8: 7E6E4537
	v_mul_f32_e32 v132, v132, v52                              // 000000005AEC: 0B086984
	v_mul_f32_e32 v133, v133, v53                              // 000000005AF0: 0B0A6B85
	v_mul_f32_e32 v134, v134, v54                              // 000000005AF4: 0B0C6D86
	v_mul_f32_e32 v135, v135, v55                              // 000000005AF8: 0B0E6F87
	v_mul_f32_e32 v132, v132, v68                              // 000000005AFC: 0B088984
	v_mul_f32_e32 v133, v133, v69                              // 000000005B00: 0B0A8B85
	v_mul_f32_e32 v134, v134, v70                              // 000000005B04: 0B0C8D86
	v_mul_f32_e32 v135, v135, v71                              // 000000005B08: 0B0E8F87
	s_waitcnt vmcnt(28)                                        // 000000005B0C: BF8C4F7C
	buffer_load_dwordx4 a[16:19], v42, s[12:15], 0 offen       // 000000005B10: E05C1000 8083102A
	v_mul_f32_e32 v52, v136, v136                              // 000000005B18: 0A691188
	v_mul_f32_e32 v53, v137, v137                              // 000000005B1C: 0A6B1389
	v_mul_f32_e32 v54, v138, v138                              // 000000005B20: 0A6D158A
	v_mul_f32_e32 v55, v139, v139                              // 000000005B24: 0A6F178B
	v_fma_f32 v52, v52, s77, v1                                // 000000005B28: D1CB0034 04049B34
	v_fma_f32 v53, v53, s77, v1                                // 000000005B30: D1CB0035 04049B35
	v_fma_f32 v54, v54, s77, v1                                // 000000005B38: D1CB0036 04049B36
	v_fma_f32 v55, v55, s77, v1                                // 000000005B40: D1CB0037 04049B37
	v_mul_f32_e32 v52, v52, v136                               // 000000005B48: 0A691134
	v_mul_f32_e32 v53, v53, v137                               // 000000005B4C: 0A6B1335
	v_mul_f32_e32 v54, v54, v138                               // 000000005B50: 0A6D1536
	v_mul_f32_e32 v55, v55, v139                               // 000000005B54: 0A6F1737
	v_mul_f32_e64 v52, v52, s6                                 // 000000005B58: D1050034 00000D34
	v_mul_f32_e64 v53, v53, s6                                 // 000000005B60: D1050035 00000D35
	v_mul_f32_e64 v54, v54, s6                                 // 000000005B68: D1050036 00000D36
	v_mul_f32_e64 v55, v55, s6                                 // 000000005B70: D1050037 00000D37
	v_exp_f32_e32 v52, v52                                     // 000000005B78: 7E684134
	v_exp_f32_e32 v53, v53                                     // 000000005B7C: 7E6A4135
	v_exp_f32_e32 v54, v54                                     // 000000005B80: 7E6C4136
	v_exp_f32_e32 v55, v55                                     // 000000005B84: 7E6E4137
	buffer_load_dwordx4 a[20:23], v43, s[12:15], 0 offen       // 000000005B88: E05C1000 8083142B
	v_add_f32_e64 v52, v52, 1.0                                // 000000005B90: D1010034 0001E534
	v_add_f32_e64 v53, v53, 1.0                                // 000000005B98: D1010035 0001E535
	v_add_f32_e64 v54, v54, 1.0                                // 000000005BA0: D1010036 0001E536
	v_add_f32_e64 v55, v55, 1.0                                // 000000005BA8: D1010037 0001E537
	v_rcp_f32_e32 v52, v52                                     // 000000005BB0: 7E684534
	v_rcp_f32_e32 v53, v53                                     // 000000005BB4: 7E6A4535
	v_rcp_f32_e32 v54, v54                                     // 000000005BB8: 7E6C4536
	v_rcp_f32_e32 v55, v55                                     // 000000005BBC: 7E6E4537
	v_mul_f32_e32 v136, v136, v52                              // 000000005BC0: 0B106988
	v_mul_f32_e32 v137, v137, v53                              // 000000005BC4: 0B126B89
	v_mul_f32_e32 v138, v138, v54                              // 000000005BC8: 0B146D8A
	v_mul_f32_e32 v139, v139, v55                              // 000000005BCC: 0B166F8B
	v_mul_f32_e32 v136, v136, v72                              // 000000005BD0: 0B109188
	v_mul_f32_e32 v137, v137, v73                              // 000000005BD4: 0B129389
	v_mul_f32_e32 v138, v138, v74                              // 000000005BD8: 0B14958A
	v_mul_f32_e32 v139, v139, v75                              // 000000005BDC: 0B16978B
	buffer_load_dwordx4 a[24:27], v44, s[12:15], 0 offen       // 000000005BE0: E05C1000 8083182C
	v_mul_f32_e32 v52, v140, v140                              // 000000005BE8: 0A69198C
	v_mul_f32_e32 v53, v141, v141                              // 000000005BEC: 0A6B1B8D
	v_mul_f32_e32 v54, v142, v142                              // 000000005BF0: 0A6D1D8E
	v_mul_f32_e32 v55, v143, v143                              // 000000005BF4: 0A6F1F8F
	v_fma_f32 v52, v52, s77, v1                                // 000000005BF8: D1CB0034 04049B34
	v_fma_f32 v53, v53, s77, v1                                // 000000005C00: D1CB0035 04049B35
	v_fma_f32 v54, v54, s77, v1                                // 000000005C08: D1CB0036 04049B36
	v_fma_f32 v55, v55, s77, v1                                // 000000005C10: D1CB0037 04049B37
	v_mul_f32_e32 v52, v52, v140                               // 000000005C18: 0A691934
	v_mul_f32_e32 v53, v53, v141                               // 000000005C1C: 0A6B1B35
	v_mul_f32_e32 v54, v54, v142                               // 000000005C20: 0A6D1D36
	v_mul_f32_e32 v55, v55, v143                               // 000000005C24: 0A6F1F37
	v_mul_f32_e64 v52, v52, s6                                 // 000000005C28: D1050034 00000D34
	v_mul_f32_e64 v53, v53, s6                                 // 000000005C30: D1050035 00000D35
	v_mul_f32_e64 v54, v54, s6                                 // 000000005C38: D1050036 00000D36
	v_mul_f32_e64 v55, v55, s6                                 // 000000005C40: D1050037 00000D37
	v_exp_f32_e32 v52, v52                                     // 000000005C48: 7E684134
	v_exp_f32_e32 v53, v53                                     // 000000005C4C: 7E6A4135
	v_exp_f32_e32 v54, v54                                     // 000000005C50: 7E6C4136
	v_exp_f32_e32 v55, v55                                     // 000000005C54: 7E6E4137
	buffer_load_dwordx4 a[28:31], v45, s[12:15], 0 offen       // 000000005C58: E05C1000 80831C2D
	s_add_u32 s12, s78, s12                                    // 000000005C60: 800C0C4E
	s_addc_u32 s13, 0, s13                                     // 000000005C64: 820D0D80
	v_add_f32_e64 v52, v52, 1.0                                // 000000005C68: D1010034 0001E534
	v_add_f32_e64 v53, v53, 1.0                                // 000000005C70: D1010035 0001E535
	v_add_f32_e64 v54, v54, 1.0                                // 000000005C78: D1010036 0001E536
	v_add_f32_e64 v55, v55, 1.0                                // 000000005C80: D1010037 0001E537
	v_rcp_f32_e32 v52, v52                                     // 000000005C88: 7E684534
	v_rcp_f32_e32 v53, v53                                     // 000000005C8C: 7E6A4535
	v_rcp_f32_e32 v54, v54                                     // 000000005C90: 7E6C4536
	v_rcp_f32_e32 v55, v55                                     // 000000005C94: 7E6E4537
	v_mul_f32_e32 v140, v140, v52                              // 000000005C98: 0B18698C
	v_mul_f32_e32 v141, v141, v53                              // 000000005C9C: 0B1A6B8D
	v_mul_f32_e32 v142, v142, v54                              // 000000005CA0: 0B1C6D8E
	v_mul_f32_e32 v143, v143, v55                              // 000000005CA4: 0B1E6F8F
	v_mul_f32_e32 v140, v140, v76                              // 000000005CA8: 0B18998C
	v_mul_f32_e32 v141, v141, v77                              // 000000005CAC: 0B1A9B8D
	v_mul_f32_e32 v142, v142, v78                              // 000000005CB0: 0B1C9D8E
	v_mul_f32_e32 v143, v143, v79                              // 000000005CB4: 0B1E9F8F
	s_waitcnt vmcnt(28)                                        // 000000005CB8: BF8C4F7C
	buffer_load_dwordx4 a[32:35], v42, s[12:15], 0 offen       // 000000005CBC: E05C1000 8083202A
	v_mul_f32_e32 v52, v144, v144                              // 000000005CC4: 0A692190
	v_mul_f32_e32 v53, v145, v145                              // 000000005CC8: 0A6B2391
	v_mul_f32_e32 v54, v146, v146                              // 000000005CCC: 0A6D2592
	v_mul_f32_e32 v55, v147, v147                              // 000000005CD0: 0A6F2793
	v_fma_f32 v52, v52, s77, v1                                // 000000005CD4: D1CB0034 04049B34
	v_fma_f32 v53, v53, s77, v1                                // 000000005CDC: D1CB0035 04049B35
	v_fma_f32 v54, v54, s77, v1                                // 000000005CE4: D1CB0036 04049B36
	v_fma_f32 v55, v55, s77, v1                                // 000000005CEC: D1CB0037 04049B37
	v_mul_f32_e32 v52, v52, v144                               // 000000005CF4: 0A692134
	v_mul_f32_e32 v53, v53, v145                               // 000000005CF8: 0A6B2335
	v_mul_f32_e32 v54, v54, v146                               // 000000005CFC: 0A6D2536
	v_mul_f32_e32 v55, v55, v147                               // 000000005D00: 0A6F2737
	v_mul_f32_e64 v52, v52, s6                                 // 000000005D04: D1050034 00000D34
	v_mul_f32_e64 v53, v53, s6                                 // 000000005D0C: D1050035 00000D35
	v_mul_f32_e64 v54, v54, s6                                 // 000000005D14: D1050036 00000D36
	v_mul_f32_e64 v55, v55, s6                                 // 000000005D1C: D1050037 00000D37
	v_exp_f32_e32 v52, v52                                     // 000000005D24: 7E684134
	v_exp_f32_e32 v53, v53                                     // 000000005D28: 7E6A4135
	v_exp_f32_e32 v54, v54                                     // 000000005D2C: 7E6C4136
	v_exp_f32_e32 v55, v55                                     // 000000005D30: 7E6E4137
	buffer_load_dwordx4 a[36:39], v43, s[12:15], 0 offen       // 000000005D34: E05C1000 8083242B
	v_add_f32_e64 v52, v52, 1.0                                // 000000005D3C: D1010034 0001E534
	v_add_f32_e64 v53, v53, 1.0                                // 000000005D44: D1010035 0001E535
	v_add_f32_e64 v54, v54, 1.0                                // 000000005D4C: D1010036 0001E536
	v_add_f32_e64 v55, v55, 1.0                                // 000000005D54: D1010037 0001E537
	v_rcp_f32_e32 v52, v52                                     // 000000005D5C: 7E684534
	v_rcp_f32_e32 v53, v53                                     // 000000005D60: 7E6A4535
	v_rcp_f32_e32 v54, v54                                     // 000000005D64: 7E6C4536
	v_rcp_f32_e32 v55, v55                                     // 000000005D68: 7E6E4537
	v_mul_f32_e32 v144, v144, v52                              // 000000005D6C: 0B206990
	v_mul_f32_e32 v145, v145, v53                              // 000000005D70: 0B226B91
	v_mul_f32_e32 v146, v146, v54                              // 000000005D74: 0B246D92
	v_mul_f32_e32 v147, v147, v55                              // 000000005D78: 0B266F93
	v_mul_f32_e32 v144, v144, v80                              // 000000005D7C: 0B20A190
	v_mul_f32_e32 v145, v145, v81                              // 000000005D80: 0B22A391
	v_mul_f32_e32 v146, v146, v82                              // 000000005D84: 0B24A592
	v_mul_f32_e32 v147, v147, v83                              // 000000005D88: 0B26A793
	buffer_load_dwordx4 a[40:43], v44, s[12:15], 0 offen       // 000000005D8C: E05C1000 8083282C
	v_mul_f32_e32 v52, v148, v148                              // 000000005D94: 0A692994
	v_mul_f32_e32 v53, v149, v149                              // 000000005D98: 0A6B2B95
	v_mul_f32_e32 v54, v150, v150                              // 000000005D9C: 0A6D2D96
	v_mul_f32_e32 v55, v151, v151                              // 000000005DA0: 0A6F2F97
	v_fma_f32 v52, v52, s77, v1                                // 000000005DA4: D1CB0034 04049B34
	v_fma_f32 v53, v53, s77, v1                                // 000000005DAC: D1CB0035 04049B35
	v_fma_f32 v54, v54, s77, v1                                // 000000005DB4: D1CB0036 04049B36
	v_fma_f32 v55, v55, s77, v1                                // 000000005DBC: D1CB0037 04049B37
	v_mul_f32_e32 v52, v52, v148                               // 000000005DC4: 0A692934
	v_mul_f32_e32 v53, v53, v149                               // 000000005DC8: 0A6B2B35
	v_mul_f32_e32 v54, v54, v150                               // 000000005DCC: 0A6D2D36
	v_mul_f32_e32 v55, v55, v151                               // 000000005DD0: 0A6F2F37
	v_mul_f32_e64 v52, v52, s6                                 // 000000005DD4: D1050034 00000D34
	v_mul_f32_e64 v53, v53, s6                                 // 000000005DDC: D1050035 00000D35
	v_mul_f32_e64 v54, v54, s6                                 // 000000005DE4: D1050036 00000D36
	v_mul_f32_e64 v55, v55, s6                                 // 000000005DEC: D1050037 00000D37
	v_exp_f32_e32 v52, v52                                     // 000000005DF4: 7E684134
	v_exp_f32_e32 v53, v53                                     // 000000005DF8: 7E6A4135
	v_exp_f32_e32 v54, v54                                     // 000000005DFC: 7E6C4136
	v_exp_f32_e32 v55, v55                                     // 000000005E00: 7E6E4137
	buffer_load_dwordx4 a[44:47], v45, s[12:15], 0 offen       // 000000005E04: E05C1000 80832C2D
	s_add_u32 s12, s78, s12                                    // 000000005E0C: 800C0C4E
	s_addc_u32 s13, 0, s13                                     // 000000005E10: 820D0D80
	v_add_f32_e64 v52, v52, 1.0                                // 000000005E14: D1010034 0001E534
	v_add_f32_e64 v53, v53, 1.0                                // 000000005E1C: D1010035 0001E535
	v_add_f32_e64 v54, v54, 1.0                                // 000000005E24: D1010036 0001E536
	v_add_f32_e64 v55, v55, 1.0                                // 000000005E2C: D1010037 0001E537
	v_rcp_f32_e32 v52, v52                                     // 000000005E34: 7E684534
	v_rcp_f32_e32 v53, v53                                     // 000000005E38: 7E6A4535
	v_rcp_f32_e32 v54, v54                                     // 000000005E3C: 7E6C4536
	v_rcp_f32_e32 v55, v55                                     // 000000005E40: 7E6E4537
	v_mul_f32_e32 v148, v148, v52                              // 000000005E44: 0B286994
	v_mul_f32_e32 v149, v149, v53                              // 000000005E48: 0B2A6B95
	v_mul_f32_e32 v150, v150, v54                              // 000000005E4C: 0B2C6D96
	v_mul_f32_e32 v151, v151, v55                              // 000000005E50: 0B2E6F97
	v_mul_f32_e32 v148, v148, v84                              // 000000005E54: 0B28A994
	v_mul_f32_e32 v149, v149, v85                              // 000000005E58: 0B2AAB95
	v_mul_f32_e32 v150, v150, v86                              // 000000005E5C: 0B2CAD96
	v_mul_f32_e32 v151, v151, v87                              // 000000005E60: 0B2EAF97
	s_waitcnt vmcnt(28)                                        // 000000005E64: BF8C4F7C
	buffer_load_dwordx4 a[48:51], v42, s[12:15], 0 offen       // 000000005E68: E05C1000 8083302A
	v_mul_f32_e32 v52, v152, v152                              // 000000005E70: 0A693198
	v_mul_f32_e32 v53, v153, v153                              // 000000005E74: 0A6B3399
	v_mul_f32_e32 v54, v154, v154                              // 000000005E78: 0A6D359A
	v_mul_f32_e32 v55, v155, v155                              // 000000005E7C: 0A6F379B
	v_fma_f32 v52, v52, s77, v1                                // 000000005E80: D1CB0034 04049B34
	v_fma_f32 v53, v53, s77, v1                                // 000000005E88: D1CB0035 04049B35
	v_fma_f32 v54, v54, s77, v1                                // 000000005E90: D1CB0036 04049B36
	v_fma_f32 v55, v55, s77, v1                                // 000000005E98: D1CB0037 04049B37
	v_mul_f32_e32 v52, v52, v152                               // 000000005EA0: 0A693134
	v_mul_f32_e32 v53, v53, v153                               // 000000005EA4: 0A6B3335
	v_mul_f32_e32 v54, v54, v154                               // 000000005EA8: 0A6D3536
	v_mul_f32_e32 v55, v55, v155                               // 000000005EAC: 0A6F3737
	v_mul_f32_e64 v52, v52, s6                                 // 000000005EB0: D1050034 00000D34
	v_mul_f32_e64 v53, v53, s6                                 // 000000005EB8: D1050035 00000D35
	v_mul_f32_e64 v54, v54, s6                                 // 000000005EC0: D1050036 00000D36
	v_mul_f32_e64 v55, v55, s6                                 // 000000005EC8: D1050037 00000D37
	v_exp_f32_e32 v52, v52                                     // 000000005ED0: 7E684134
	v_exp_f32_e32 v53, v53                                     // 000000005ED4: 7E6A4135
	v_exp_f32_e32 v54, v54                                     // 000000005ED8: 7E6C4136
	v_exp_f32_e32 v55, v55                                     // 000000005EDC: 7E6E4137
	buffer_load_dwordx4 a[52:55], v43, s[12:15], 0 offen       // 000000005EE0: E05C1000 8083342B
	v_add_f32_e64 v52, v52, 1.0                                // 000000005EE8: D1010034 0001E534
	v_add_f32_e64 v53, v53, 1.0                                // 000000005EF0: D1010035 0001E535
	v_add_f32_e64 v54, v54, 1.0                                // 000000005EF8: D1010036 0001E536
	v_add_f32_e64 v55, v55, 1.0                                // 000000005F00: D1010037 0001E537
	v_rcp_f32_e32 v52, v52                                     // 000000005F08: 7E684534
	v_rcp_f32_e32 v53, v53                                     // 000000005F0C: 7E6A4535
	v_rcp_f32_e32 v54, v54                                     // 000000005F10: 7E6C4536
	v_rcp_f32_e32 v55, v55                                     // 000000005F14: 7E6E4537
	v_mul_f32_e32 v152, v152, v52                              // 000000005F18: 0B306998
	v_mul_f32_e32 v153, v153, v53                              // 000000005F1C: 0B326B99
	v_mul_f32_e32 v154, v154, v54                              // 000000005F20: 0B346D9A
	v_mul_f32_e32 v155, v155, v55                              // 000000005F24: 0B366F9B
	v_mul_f32_e32 v152, v152, v88                              // 000000005F28: 0B30B198
	v_mul_f32_e32 v153, v153, v89                              // 000000005F2C: 0B32B399
	v_mul_f32_e32 v154, v154, v90                              // 000000005F30: 0B34B59A
	v_mul_f32_e32 v155, v155, v91                              // 000000005F34: 0B36B79B
	buffer_load_dwordx4 a[56:59], v44, s[12:15], 0 offen       // 000000005F38: E05C1000 8083382C
	v_mul_f32_e32 v52, v156, v156                              // 000000005F40: 0A69399C
	v_mul_f32_e32 v53, v157, v157                              // 000000005F44: 0A6B3B9D
	v_mul_f32_e32 v54, v158, v158                              // 000000005F48: 0A6D3D9E
	v_mul_f32_e32 v55, v159, v159                              // 000000005F4C: 0A6F3F9F
	v_fma_f32 v52, v52, s77, v1                                // 000000005F50: D1CB0034 04049B34
	v_fma_f32 v53, v53, s77, v1                                // 000000005F58: D1CB0035 04049B35
	v_fma_f32 v54, v54, s77, v1                                // 000000005F60: D1CB0036 04049B36
	v_fma_f32 v55, v55, s77, v1                                // 000000005F68: D1CB0037 04049B37
	v_mul_f32_e32 v52, v52, v156                               // 000000005F70: 0A693934
	v_mul_f32_e32 v53, v53, v157                               // 000000005F74: 0A6B3B35
	v_mul_f32_e32 v54, v54, v158                               // 000000005F78: 0A6D3D36
	v_mul_f32_e32 v55, v55, v159                               // 000000005F7C: 0A6F3F37
	v_mul_f32_e64 v52, v52, s6                                 // 000000005F80: D1050034 00000D34
	v_mul_f32_e64 v53, v53, s6                                 // 000000005F88: D1050035 00000D35
	v_mul_f32_e64 v54, v54, s6                                 // 000000005F90: D1050036 00000D36
	v_mul_f32_e64 v55, v55, s6                                 // 000000005F98: D1050037 00000D37
	v_exp_f32_e32 v52, v52                                     // 000000005FA0: 7E684134
	v_exp_f32_e32 v53, v53                                     // 000000005FA4: 7E6A4135
	v_exp_f32_e32 v54, v54                                     // 000000005FA8: 7E6C4136
	v_exp_f32_e32 v55, v55                                     // 000000005FAC: 7E6E4137
	buffer_load_dwordx4 a[60:63], v45, s[12:15], 0 offen       // 000000005FB0: E05C1000 80833C2D
	s_add_u32 s12, s78, s12                                    // 000000005FB8: 800C0C4E
	s_addc_u32 s13, 0, s13                                     // 000000005FBC: 820D0D80
	v_add_f32_e64 v52, v52, 1.0                                // 000000005FC0: D1010034 0001E534
	v_add_f32_e64 v53, v53, 1.0                                // 000000005FC8: D1010035 0001E535
	v_add_f32_e64 v54, v54, 1.0                                // 000000005FD0: D1010036 0001E536
	v_add_f32_e64 v55, v55, 1.0                                // 000000005FD8: D1010037 0001E537
	v_rcp_f32_e32 v52, v52                                     // 000000005FE0: 7E684534
	v_rcp_f32_e32 v53, v53                                     // 000000005FE4: 7E6A4535
	v_rcp_f32_e32 v54, v54                                     // 000000005FE8: 7E6C4536
	v_rcp_f32_e32 v55, v55                                     // 000000005FEC: 7E6E4537
	v_mul_f32_e32 v156, v156, v52                              // 000000005FF0: 0B38699C
	v_mul_f32_e32 v157, v157, v53                              // 000000005FF4: 0B3A6B9D
	v_mul_f32_e32 v158, v158, v54                              // 000000005FF8: 0B3C6D9E
	v_mul_f32_e32 v159, v159, v55                              // 000000005FFC: 0B3E6F9F
	v_mul_f32_e32 v156, v156, v92                              // 000000006000: 0B38B99C
	v_mul_f32_e32 v157, v157, v93                              // 000000006004: 0B3ABB9D
	v_mul_f32_e32 v158, v158, v94                              // 000000006008: 0B3CBD9E
	v_mul_f32_e32 v159, v159, v95                              // 00000000600C: 0B3EBF9F
	s_waitcnt vmcnt(28)                                        // 000000006010: BF8C4F7C
	buffer_load_dwordx4 a[64:67], v42, s[12:15], 0 offen       // 000000006014: E05C1000 8083402A
	v_mul_f32_e32 v52, v160, v160                              // 00000000601C: 0A6941A0
	v_mul_f32_e32 v53, v161, v161                              // 000000006020: 0A6B43A1
	v_mul_f32_e32 v54, v162, v162                              // 000000006024: 0A6D45A2
	v_mul_f32_e32 v55, v163, v163                              // 000000006028: 0A6F47A3
	v_fma_f32 v52, v52, s77, v1                                // 00000000602C: D1CB0034 04049B34
	v_fma_f32 v53, v53, s77, v1                                // 000000006034: D1CB0035 04049B35
	v_fma_f32 v54, v54, s77, v1                                // 00000000603C: D1CB0036 04049B36
	v_fma_f32 v55, v55, s77, v1                                // 000000006044: D1CB0037 04049B37
	v_mul_f32_e32 v52, v52, v160                               // 00000000604C: 0A694134
	v_mul_f32_e32 v53, v53, v161                               // 000000006050: 0A6B4335
	v_mul_f32_e32 v54, v54, v162                               // 000000006054: 0A6D4536
	v_mul_f32_e32 v55, v55, v163                               // 000000006058: 0A6F4737
	v_mul_f32_e64 v52, v52, s6                                 // 00000000605C: D1050034 00000D34
	v_mul_f32_e64 v53, v53, s6                                 // 000000006064: D1050035 00000D35
	v_mul_f32_e64 v54, v54, s6                                 // 00000000606C: D1050036 00000D36
	v_mul_f32_e64 v55, v55, s6                                 // 000000006074: D1050037 00000D37
	v_exp_f32_e32 v52, v52                                     // 00000000607C: 7E684134
	v_exp_f32_e32 v53, v53                                     // 000000006080: 7E6A4135
	v_exp_f32_e32 v54, v54                                     // 000000006084: 7E6C4136
	v_exp_f32_e32 v55, v55                                     // 000000006088: 7E6E4137
	buffer_load_dwordx4 a[68:71], v43, s[12:15], 0 offen       // 00000000608C: E05C1000 8083442B
	v_add_f32_e64 v52, v52, 1.0                                // 000000006094: D1010034 0001E534
	v_add_f32_e64 v53, v53, 1.0                                // 00000000609C: D1010035 0001E535
	v_add_f32_e64 v54, v54, 1.0                                // 0000000060A4: D1010036 0001E536
	v_add_f32_e64 v55, v55, 1.0                                // 0000000060AC: D1010037 0001E537
	v_rcp_f32_e32 v52, v52                                     // 0000000060B4: 7E684534
	v_rcp_f32_e32 v53, v53                                     // 0000000060B8: 7E6A4535
	v_rcp_f32_e32 v54, v54                                     // 0000000060BC: 7E6C4536
	v_rcp_f32_e32 v55, v55                                     // 0000000060C0: 7E6E4537
	v_mul_f32_e32 v160, v160, v52                              // 0000000060C4: 0B4069A0
	v_mul_f32_e32 v161, v161, v53                              // 0000000060C8: 0B426BA1
	v_mul_f32_e32 v162, v162, v54                              // 0000000060CC: 0B446DA2
	v_mul_f32_e32 v163, v163, v55                              // 0000000060D0: 0B466FA3
	v_mul_f32_e32 v160, v160, v96                              // 0000000060D4: 0B40C1A0
	v_mul_f32_e32 v161, v161, v97                              // 0000000060D8: 0B42C3A1
	v_mul_f32_e32 v162, v162, v98                              // 0000000060DC: 0B44C5A2
	v_mul_f32_e32 v163, v163, v99                              // 0000000060E0: 0B46C7A3
	buffer_load_dwordx4 a[72:75], v44, s[12:15], 0 offen       // 0000000060E4: E05C1000 8083482C
	v_mul_f32_e32 v52, v164, v164                              // 0000000060EC: 0A6949A4
	v_mul_f32_e32 v53, v165, v165                              // 0000000060F0: 0A6B4BA5
	v_mul_f32_e32 v54, v166, v166                              // 0000000060F4: 0A6D4DA6
	v_mul_f32_e32 v55, v167, v167                              // 0000000060F8: 0A6F4FA7
	v_fma_f32 v52, v52, s77, v1                                // 0000000060FC: D1CB0034 04049B34
	v_fma_f32 v53, v53, s77, v1                                // 000000006104: D1CB0035 04049B35
	v_fma_f32 v54, v54, s77, v1                                // 00000000610C: D1CB0036 04049B36
	v_fma_f32 v55, v55, s77, v1                                // 000000006114: D1CB0037 04049B37
	v_mul_f32_e32 v52, v52, v164                               // 00000000611C: 0A694934
	v_mul_f32_e32 v53, v53, v165                               // 000000006120: 0A6B4B35
	v_mul_f32_e32 v54, v54, v166                               // 000000006124: 0A6D4D36
	v_mul_f32_e32 v55, v55, v167                               // 000000006128: 0A6F4F37
	v_mul_f32_e64 v52, v52, s6                                 // 00000000612C: D1050034 00000D34
	v_mul_f32_e64 v53, v53, s6                                 // 000000006134: D1050035 00000D35
	v_mul_f32_e64 v54, v54, s6                                 // 00000000613C: D1050036 00000D36
	v_mul_f32_e64 v55, v55, s6                                 // 000000006144: D1050037 00000D37
	v_exp_f32_e32 v52, v52                                     // 00000000614C: 7E684134
	v_exp_f32_e32 v53, v53                                     // 000000006150: 7E6A4135
	v_exp_f32_e32 v54, v54                                     // 000000006154: 7E6C4136
	v_exp_f32_e32 v55, v55                                     // 000000006158: 7E6E4137
	buffer_load_dwordx4 a[76:79], v45, s[12:15], 0 offen       // 00000000615C: E05C1000 80834C2D
	s_add_u32 s12, s78, s12                                    // 000000006164: 800C0C4E
	s_addc_u32 s13, 0, s13                                     // 000000006168: 820D0D80
	v_add_f32_e64 v52, v52, 1.0                                // 00000000616C: D1010034 0001E534
	v_add_f32_e64 v53, v53, 1.0                                // 000000006174: D1010035 0001E535
	v_add_f32_e64 v54, v54, 1.0                                // 00000000617C: D1010036 0001E536
	v_add_f32_e64 v55, v55, 1.0                                // 000000006184: D1010037 0001E537
	v_rcp_f32_e32 v52, v52                                     // 00000000618C: 7E684534
	v_rcp_f32_e32 v53, v53                                     // 000000006190: 7E6A4535
	v_rcp_f32_e32 v54, v54                                     // 000000006194: 7E6C4536
	v_rcp_f32_e32 v55, v55                                     // 000000006198: 7E6E4537
	v_mul_f32_e32 v164, v164, v52                              // 00000000619C: 0B4869A4
	v_mul_f32_e32 v165, v165, v53                              // 0000000061A0: 0B4A6BA5
	v_mul_f32_e32 v166, v166, v54                              // 0000000061A4: 0B4C6DA6
	v_mul_f32_e32 v167, v167, v55                              // 0000000061A8: 0B4E6FA7
	v_mul_f32_e32 v164, v164, v100                             // 0000000061AC: 0B48C9A4
	v_mul_f32_e32 v165, v165, v101                             // 0000000061B0: 0B4ACBA5
	v_mul_f32_e32 v166, v166, v102                             // 0000000061B4: 0B4CCDA6
	v_mul_f32_e32 v167, v167, v103                             // 0000000061B8: 0B4ECFA7
	s_waitcnt vmcnt(28)                                        // 0000000061BC: BF8C4F7C
	buffer_load_dwordx4 a[80:83], v42, s[12:15], 0 offen       // 0000000061C0: E05C1000 8083502A
	v_mul_f32_e32 v52, v168, v168                              // 0000000061C8: 0A6951A8
	v_mul_f32_e32 v53, v169, v169                              // 0000000061CC: 0A6B53A9
	v_mul_f32_e32 v54, v170, v170                              // 0000000061D0: 0A6D55AA
	v_mul_f32_e32 v55, v171, v171                              // 0000000061D4: 0A6F57AB
	v_fma_f32 v52, v52, s77, v1                                // 0000000061D8: D1CB0034 04049B34
	v_fma_f32 v53, v53, s77, v1                                // 0000000061E0: D1CB0035 04049B35
	v_fma_f32 v54, v54, s77, v1                                // 0000000061E8: D1CB0036 04049B36
	v_fma_f32 v55, v55, s77, v1                                // 0000000061F0: D1CB0037 04049B37
	v_mul_f32_e32 v52, v52, v168                               // 0000000061F8: 0A695134
	v_mul_f32_e32 v53, v53, v169                               // 0000000061FC: 0A6B5335
	v_mul_f32_e32 v54, v54, v170                               // 000000006200: 0A6D5536
	v_mul_f32_e32 v55, v55, v171                               // 000000006204: 0A6F5737
	v_mul_f32_e64 v52, v52, s6                                 // 000000006208: D1050034 00000D34
	v_mul_f32_e64 v53, v53, s6                                 // 000000006210: D1050035 00000D35
	v_mul_f32_e64 v54, v54, s6                                 // 000000006218: D1050036 00000D36
	v_mul_f32_e64 v55, v55, s6                                 // 000000006220: D1050037 00000D37
	v_exp_f32_e32 v52, v52                                     // 000000006228: 7E684134
	v_exp_f32_e32 v53, v53                                     // 00000000622C: 7E6A4135
	v_exp_f32_e32 v54, v54                                     // 000000006230: 7E6C4136
	v_exp_f32_e32 v55, v55                                     // 000000006234: 7E6E4137
	buffer_load_dwordx4 a[84:87], v43, s[12:15], 0 offen       // 000000006238: E05C1000 8083542B
	v_add_f32_e64 v52, v52, 1.0                                // 000000006240: D1010034 0001E534
	v_add_f32_e64 v53, v53, 1.0                                // 000000006248: D1010035 0001E535
	v_add_f32_e64 v54, v54, 1.0                                // 000000006250: D1010036 0001E536
	v_add_f32_e64 v55, v55, 1.0                                // 000000006258: D1010037 0001E537
	v_rcp_f32_e32 v52, v52                                     // 000000006260: 7E684534
	v_rcp_f32_e32 v53, v53                                     // 000000006264: 7E6A4535
	v_rcp_f32_e32 v54, v54                                     // 000000006268: 7E6C4536
	v_rcp_f32_e32 v55, v55                                     // 00000000626C: 7E6E4537
	v_mul_f32_e32 v168, v168, v52                              // 000000006270: 0B5069A8
	v_mul_f32_e32 v169, v169, v53                              // 000000006274: 0B526BA9
	v_mul_f32_e32 v170, v170, v54                              // 000000006278: 0B546DAA
	v_mul_f32_e32 v171, v171, v55                              // 00000000627C: 0B566FAB
	v_mul_f32_e32 v168, v168, v104                             // 000000006280: 0B50D1A8
	v_mul_f32_e32 v169, v169, v105                             // 000000006284: 0B52D3A9
	v_mul_f32_e32 v170, v170, v106                             // 000000006288: 0B54D5AA
	v_mul_f32_e32 v171, v171, v107                             // 00000000628C: 0B56D7AB
	buffer_load_dwordx4 a[88:91], v44, s[12:15], 0 offen       // 000000006290: E05C1000 8083582C
	v_mul_f32_e32 v52, v172, v172                              // 000000006298: 0A6959AC
	v_mul_f32_e32 v53, v173, v173                              // 00000000629C: 0A6B5BAD
	v_mul_f32_e32 v54, v174, v174                              // 0000000062A0: 0A6D5DAE
	v_mul_f32_e32 v55, v175, v175                              // 0000000062A4: 0A6F5FAF
	v_fma_f32 v52, v52, s77, v1                                // 0000000062A8: D1CB0034 04049B34
	v_fma_f32 v53, v53, s77, v1                                // 0000000062B0: D1CB0035 04049B35
	v_fma_f32 v54, v54, s77, v1                                // 0000000062B8: D1CB0036 04049B36
	v_fma_f32 v55, v55, s77, v1                                // 0000000062C0: D1CB0037 04049B37
	v_mul_f32_e32 v52, v52, v172                               // 0000000062C8: 0A695934
	v_mul_f32_e32 v53, v53, v173                               // 0000000062CC: 0A6B5B35
	v_mul_f32_e32 v54, v54, v174                               // 0000000062D0: 0A6D5D36
	v_mul_f32_e32 v55, v55, v175                               // 0000000062D4: 0A6F5F37
	v_mul_f32_e64 v52, v52, s6                                 // 0000000062D8: D1050034 00000D34
	v_mul_f32_e64 v53, v53, s6                                 // 0000000062E0: D1050035 00000D35
	v_mul_f32_e64 v54, v54, s6                                 // 0000000062E8: D1050036 00000D36
	v_mul_f32_e64 v55, v55, s6                                 // 0000000062F0: D1050037 00000D37
	v_exp_f32_e32 v52, v52                                     // 0000000062F8: 7E684134
	v_exp_f32_e32 v53, v53                                     // 0000000062FC: 7E6A4135
	v_exp_f32_e32 v54, v54                                     // 000000006300: 7E6C4136
	v_exp_f32_e32 v55, v55                                     // 000000006304: 7E6E4137
	buffer_load_dwordx4 a[92:95], v45, s[12:15], 0 offen       // 000000006308: E05C1000 80835C2D
	s_add_u32 s12, s78, s12                                    // 000000006310: 800C0C4E
	s_addc_u32 s13, 0, s13                                     // 000000006314: 820D0D80
	v_add_f32_e64 v52, v52, 1.0                                // 000000006318: D1010034 0001E534
	v_add_f32_e64 v53, v53, 1.0                                // 000000006320: D1010035 0001E535
	v_add_f32_e64 v54, v54, 1.0                                // 000000006328: D1010036 0001E536
	v_add_f32_e64 v55, v55, 1.0                                // 000000006330: D1010037 0001E537
	v_rcp_f32_e32 v52, v52                                     // 000000006338: 7E684534
	v_rcp_f32_e32 v53, v53                                     // 00000000633C: 7E6A4535
	v_rcp_f32_e32 v54, v54                                     // 000000006340: 7E6C4536
	v_rcp_f32_e32 v55, v55                                     // 000000006344: 7E6E4537
	v_mul_f32_e32 v172, v172, v52                              // 000000006348: 0B5869AC
	v_mul_f32_e32 v173, v173, v53                              // 00000000634C: 0B5A6BAD
	v_mul_f32_e32 v174, v174, v54                              // 000000006350: 0B5C6DAE
	v_mul_f32_e32 v175, v175, v55                              // 000000006354: 0B5E6FAF
	v_mul_f32_e32 v172, v172, v108                             // 000000006358: 0B58D9AC
	v_mul_f32_e32 v173, v173, v109                             // 00000000635C: 0B5ADBAD
	v_mul_f32_e32 v174, v174, v110                             // 000000006360: 0B5CDDAE
	v_mul_f32_e32 v175, v175, v111                             // 000000006364: 0B5EDFAF
	s_waitcnt vmcnt(28)                                        // 000000006368: BF8C4F7C
	buffer_load_dwordx4 a[96:99], v42, s[12:15], 0 offen       // 00000000636C: E05C1000 8083602A
	v_mul_f32_e32 v52, v176, v176                              // 000000006374: 0A6961B0
	v_mul_f32_e32 v53, v177, v177                              // 000000006378: 0A6B63B1
	v_mul_f32_e32 v54, v178, v178                              // 00000000637C: 0A6D65B2
	v_mul_f32_e32 v55, v179, v179                              // 000000006380: 0A6F67B3
	v_fma_f32 v52, v52, s77, v1                                // 000000006384: D1CB0034 04049B34
	v_fma_f32 v53, v53, s77, v1                                // 00000000638C: D1CB0035 04049B35
	v_fma_f32 v54, v54, s77, v1                                // 000000006394: D1CB0036 04049B36
	v_fma_f32 v55, v55, s77, v1                                // 00000000639C: D1CB0037 04049B37
	v_mul_f32_e32 v52, v52, v176                               // 0000000063A4: 0A696134
	v_mul_f32_e32 v53, v53, v177                               // 0000000063A8: 0A6B6335
	v_mul_f32_e32 v54, v54, v178                               // 0000000063AC: 0A6D6536
	v_mul_f32_e32 v55, v55, v179                               // 0000000063B0: 0A6F6737
	v_mul_f32_e64 v52, v52, s6                                 // 0000000063B4: D1050034 00000D34
	v_mul_f32_e64 v53, v53, s6                                 // 0000000063BC: D1050035 00000D35
	v_mul_f32_e64 v54, v54, s6                                 // 0000000063C4: D1050036 00000D36
	v_mul_f32_e64 v55, v55, s6                                 // 0000000063CC: D1050037 00000D37
	v_exp_f32_e32 v52, v52                                     // 0000000063D4: 7E684134
	v_exp_f32_e32 v53, v53                                     // 0000000063D8: 7E6A4135
	v_exp_f32_e32 v54, v54                                     // 0000000063DC: 7E6C4136
	v_exp_f32_e32 v55, v55                                     // 0000000063E0: 7E6E4137
	buffer_load_dwordx4 a[100:103], v43, s[12:15], 0 offen     // 0000000063E4: E05C1000 8083642B
	v_add_f32_e64 v52, v52, 1.0                                // 0000000063EC: D1010034 0001E534
	v_add_f32_e64 v53, v53, 1.0                                // 0000000063F4: D1010035 0001E535
	v_add_f32_e64 v54, v54, 1.0                                // 0000000063FC: D1010036 0001E536
	v_add_f32_e64 v55, v55, 1.0                                // 000000006404: D1010037 0001E537
	v_rcp_f32_e32 v52, v52                                     // 00000000640C: 7E684534
	v_rcp_f32_e32 v53, v53                                     // 000000006410: 7E6A4535
	v_rcp_f32_e32 v54, v54                                     // 000000006414: 7E6C4536
	v_rcp_f32_e32 v55, v55                                     // 000000006418: 7E6E4537
	v_mul_f32_e32 v176, v176, v52                              // 00000000641C: 0B6069B0
	v_mul_f32_e32 v177, v177, v53                              // 000000006420: 0B626BB1
	v_mul_f32_e32 v178, v178, v54                              // 000000006424: 0B646DB2
	v_mul_f32_e32 v179, v179, v55                              // 000000006428: 0B666FB3
	v_mul_f32_e32 v176, v176, v112                             // 00000000642C: 0B60E1B0
	v_mul_f32_e32 v177, v177, v113                             // 000000006430: 0B62E3B1
	v_mul_f32_e32 v178, v178, v114                             // 000000006434: 0B64E5B2
	v_mul_f32_e32 v179, v179, v115                             // 000000006438: 0B66E7B3
	buffer_load_dwordx4 a[104:107], v44, s[12:15], 0 offen     // 00000000643C: E05C1000 8083682C
	v_mul_f32_e32 v52, v180, v180                              // 000000006444: 0A6969B4
	v_mul_f32_e32 v53, v181, v181                              // 000000006448: 0A6B6BB5
	v_mul_f32_e32 v54, v182, v182                              // 00000000644C: 0A6D6DB6
	v_mul_f32_e32 v55, v183, v183                              // 000000006450: 0A6F6FB7
	v_fma_f32 v52, v52, s77, v1                                // 000000006454: D1CB0034 04049B34
	v_fma_f32 v53, v53, s77, v1                                // 00000000645C: D1CB0035 04049B35
	v_fma_f32 v54, v54, s77, v1                                // 000000006464: D1CB0036 04049B36
	v_fma_f32 v55, v55, s77, v1                                // 00000000646C: D1CB0037 04049B37
	v_mul_f32_e32 v52, v52, v180                               // 000000006474: 0A696934
	v_mul_f32_e32 v53, v53, v181                               // 000000006478: 0A6B6B35
	v_mul_f32_e32 v54, v54, v182                               // 00000000647C: 0A6D6D36
	v_mul_f32_e32 v55, v55, v183                               // 000000006480: 0A6F6F37
	v_mul_f32_e64 v52, v52, s6                                 // 000000006484: D1050034 00000D34
	v_mul_f32_e64 v53, v53, s6                                 // 00000000648C: D1050035 00000D35
	v_mul_f32_e64 v54, v54, s6                                 // 000000006494: D1050036 00000D36
	v_mul_f32_e64 v55, v55, s6                                 // 00000000649C: D1050037 00000D37
	v_exp_f32_e32 v52, v52                                     // 0000000064A4: 7E684134
	v_exp_f32_e32 v53, v53                                     // 0000000064A8: 7E6A4135
	v_exp_f32_e32 v54, v54                                     // 0000000064AC: 7E6C4136
	v_exp_f32_e32 v55, v55                                     // 0000000064B0: 7E6E4137
	buffer_load_dwordx4 a[108:111], v45, s[12:15], 0 offen     // 0000000064B4: E05C1000 80836C2D
	s_add_u32 s12, s78, s12                                    // 0000000064BC: 800C0C4E
	s_addc_u32 s13, 0, s13                                     // 0000000064C0: 820D0D80
	v_add_f32_e64 v52, v52, 1.0                                // 0000000064C4: D1010034 0001E534
	v_add_f32_e64 v53, v53, 1.0                                // 0000000064CC: D1010035 0001E535
	v_add_f32_e64 v54, v54, 1.0                                // 0000000064D4: D1010036 0001E536
	v_add_f32_e64 v55, v55, 1.0                                // 0000000064DC: D1010037 0001E537
	v_rcp_f32_e32 v52, v52                                     // 0000000064E4: 7E684534
	v_rcp_f32_e32 v53, v53                                     // 0000000064E8: 7E6A4535
	v_rcp_f32_e32 v54, v54                                     // 0000000064EC: 7E6C4536
	v_rcp_f32_e32 v55, v55                                     // 0000000064F0: 7E6E4537
	v_mul_f32_e32 v180, v180, v52                              // 0000000064F4: 0B6869B4
	v_mul_f32_e32 v181, v181, v53                              // 0000000064F8: 0B6A6BB5
	v_mul_f32_e32 v182, v182, v54                              // 0000000064FC: 0B6C6DB6
	v_mul_f32_e32 v183, v183, v55                              // 000000006500: 0B6E6FB7
	v_mul_f32_e32 v180, v180, v116                             // 000000006504: 0B68E9B4
	v_mul_f32_e32 v181, v181, v117                             // 000000006508: 0B6AEBB5
	v_mul_f32_e32 v182, v182, v118                             // 00000000650C: 0B6CEDB6
	v_mul_f32_e32 v183, v183, v119                             // 000000006510: 0B6EEFB7
	s_waitcnt vmcnt(28)                                        // 000000006514: BF8C4F7C
	buffer_load_dwordx4 a[112:115], v42, s[12:15], 0 offen     // 000000006518: E05C1000 8083702A
	v_mul_f32_e32 v52, v184, v184                              // 000000006520: 0A6971B8
	v_mul_f32_e32 v53, v185, v185                              // 000000006524: 0A6B73B9
	v_mul_f32_e32 v54, v186, v186                              // 000000006528: 0A6D75BA
	v_mul_f32_e32 v55, v187, v187                              // 00000000652C: 0A6F77BB
	v_fma_f32 v52, v52, s77, v1                                // 000000006530: D1CB0034 04049B34
	v_fma_f32 v53, v53, s77, v1                                // 000000006538: D1CB0035 04049B35
	v_fma_f32 v54, v54, s77, v1                                // 000000006540: D1CB0036 04049B36
	v_fma_f32 v55, v55, s77, v1                                // 000000006548: D1CB0037 04049B37
	v_mul_f32_e32 v52, v52, v184                               // 000000006550: 0A697134
	v_mul_f32_e32 v53, v53, v185                               // 000000006554: 0A6B7335
	v_mul_f32_e32 v54, v54, v186                               // 000000006558: 0A6D7536
	v_mul_f32_e32 v55, v55, v187                               // 00000000655C: 0A6F7737
	v_mul_f32_e64 v52, v52, s6                                 // 000000006560: D1050034 00000D34
	v_mul_f32_e64 v53, v53, s6                                 // 000000006568: D1050035 00000D35
	v_mul_f32_e64 v54, v54, s6                                 // 000000006570: D1050036 00000D36
	v_mul_f32_e64 v55, v55, s6                                 // 000000006578: D1050037 00000D37
	v_exp_f32_e32 v52, v52                                     // 000000006580: 7E684134
	v_exp_f32_e32 v53, v53                                     // 000000006584: 7E6A4135
	v_exp_f32_e32 v54, v54                                     // 000000006588: 7E6C4136
	v_exp_f32_e32 v55, v55                                     // 00000000658C: 7E6E4137
	buffer_load_dwordx4 a[116:119], v43, s[12:15], 0 offen     // 000000006590: E05C1000 8083742B
	v_add_f32_e64 v52, v52, 1.0                                // 000000006598: D1010034 0001E534
	v_add_f32_e64 v53, v53, 1.0                                // 0000000065A0: D1010035 0001E535
	v_add_f32_e64 v54, v54, 1.0                                // 0000000065A8: D1010036 0001E536
	v_add_f32_e64 v55, v55, 1.0                                // 0000000065B0: D1010037 0001E537
	v_rcp_f32_e32 v52, v52                                     // 0000000065B8: 7E684534
	v_rcp_f32_e32 v53, v53                                     // 0000000065BC: 7E6A4535
	v_rcp_f32_e32 v54, v54                                     // 0000000065C0: 7E6C4536
	v_rcp_f32_e32 v55, v55                                     // 0000000065C4: 7E6E4537
	v_mul_f32_e32 v184, v184, v52                              // 0000000065C8: 0B7069B8
	v_mul_f32_e32 v185, v185, v53                              // 0000000065CC: 0B726BB9
	v_mul_f32_e32 v186, v186, v54                              // 0000000065D0: 0B746DBA
	v_mul_f32_e32 v187, v187, v55                              // 0000000065D4: 0B766FBB
	v_mul_f32_e32 v184, v184, v120                             // 0000000065D8: 0B70F1B8
	v_mul_f32_e32 v185, v185, v121                             // 0000000065DC: 0B72F3B9
	v_mul_f32_e32 v186, v186, v122                             // 0000000065E0: 0B74F5BA
	v_mul_f32_e32 v187, v187, v123                             // 0000000065E4: 0B76F7BB
	buffer_load_dwordx4 a[120:123], v44, s[12:15], 0 offen     // 0000000065E8: E05C1000 8083782C
	v_mul_f32_e32 v52, v188, v188                              // 0000000065F0: 0A6979BC
	v_mul_f32_e32 v53, v189, v189                              // 0000000065F4: 0A6B7BBD
	v_mul_f32_e32 v54, v190, v190                              // 0000000065F8: 0A6D7DBE
	v_mul_f32_e32 v55, v191, v191                              // 0000000065FC: 0A6F7FBF
	v_fma_f32 v52, v52, s77, v1                                // 000000006600: D1CB0034 04049B34
	v_fma_f32 v53, v53, s77, v1                                // 000000006608: D1CB0035 04049B35
	v_fma_f32 v54, v54, s77, v1                                // 000000006610: D1CB0036 04049B36
	v_fma_f32 v55, v55, s77, v1                                // 000000006618: D1CB0037 04049B37
	v_mul_f32_e32 v52, v52, v188                               // 000000006620: 0A697934
	v_mul_f32_e32 v53, v53, v189                               // 000000006624: 0A6B7B35
	v_mul_f32_e32 v54, v54, v190                               // 000000006628: 0A6D7D36
	v_mul_f32_e32 v55, v55, v191                               // 00000000662C: 0A6F7F37
	v_mul_f32_e64 v52, v52, s6                                 // 000000006630: D1050034 00000D34
	v_mul_f32_e64 v53, v53, s6                                 // 000000006638: D1050035 00000D35
	v_mul_f32_e64 v54, v54, s6                                 // 000000006640: D1050036 00000D36
	v_mul_f32_e64 v55, v55, s6                                 // 000000006648: D1050037 00000D37
	v_exp_f32_e32 v52, v52                                     // 000000006650: 7E684134
	v_exp_f32_e32 v53, v53                                     // 000000006654: 7E6A4135
	v_exp_f32_e32 v54, v54                                     // 000000006658: 7E6C4136
	v_exp_f32_e32 v55, v55                                     // 00000000665C: 7E6E4137
	buffer_load_dwordx4 a[124:127], v45, s[12:15], 0 offen     // 000000006660: E05C1000 80837C2D
	v_add_f32_e64 v52, v52, 1.0                                // 000000006668: D1010034 0001E534
	v_add_f32_e64 v53, v53, 1.0                                // 000000006670: D1010035 0001E535
	v_add_f32_e64 v54, v54, 1.0                                // 000000006678: D1010036 0001E536
	v_add_f32_e64 v55, v55, 1.0                                // 000000006680: D1010037 0001E537
	v_rcp_f32_e32 v52, v52                                     // 000000006688: 7E684534
	v_rcp_f32_e32 v53, v53                                     // 00000000668C: 7E6A4535
	v_rcp_f32_e32 v54, v54                                     // 000000006690: 7E6C4536
	v_rcp_f32_e32 v55, v55                                     // 000000006694: 7E6E4537
	v_mul_f32_e32 v188, v188, v52                              // 000000006698: 0B7869BC
	v_mul_f32_e32 v189, v189, v53                              // 00000000669C: 0B7A6BBD
	v_mul_f32_e32 v190, v190, v54                              // 0000000066A0: 0B7C6DBE
	v_mul_f32_e32 v191, v191, v55                              // 0000000066A4: 0B7E6FBF
	v_mul_f32_e32 v188, v188, v124                             // 0000000066A8: 0B78F9BC
	v_mul_f32_e32 v189, v189, v125                             // 0000000066AC: 0B7AFBBD
	v_mul_f32_e32 v190, v190, v126                             // 0000000066B0: 0B7CFDBE
	v_mul_f32_e32 v191, v191, v127                             // 0000000066B4: 0B7EFFBF
	v_mul_f32_dpp v128, v18, v128 row_newbcast:0 row_mask:0xf bank_mask:0xf// 0000000066B8: 0B0100FA FF015012
	v_mul_f32_dpp v129, v18, v129 row_newbcast:1 row_mask:0xf bank_mask:0xf// 0000000066C0: 0B0302FA FF015112
	v_mul_f32_dpp v130, v18, v130 row_newbcast:2 row_mask:0xf bank_mask:0xf// 0000000066C8: 0B0504FA FF015212
	v_mul_f32_dpp v131, v18, v131 row_newbcast:3 row_mask:0xf bank_mask:0xf// 0000000066D0: 0B0706FA FF015312
	v_mul_f32_dpp v132, v18, v132 row_newbcast:0 row_mask:0xf bank_mask:0xf// 0000000066D8: 0B0908FA FF015012
	v_mul_f32_dpp v133, v18, v133 row_newbcast:1 row_mask:0xf bank_mask:0xf// 0000000066E0: 0B0B0AFA FF015112
	v_mul_f32_dpp v134, v18, v134 row_newbcast:2 row_mask:0xf bank_mask:0xf// 0000000066E8: 0B0D0CFA FF015212
	v_mul_f32_dpp v135, v18, v135 row_newbcast:3 row_mask:0xf bank_mask:0xf// 0000000066F0: 0B0F0EFA FF015312
	v_mul_f32_dpp v136, v18, v136 row_newbcast:4 row_mask:0xf bank_mask:0xf// 0000000066F8: 0B1110FA FF015412
	v_mul_f32_dpp v137, v18, v137 row_newbcast:5 row_mask:0xf bank_mask:0xf// 000000006700: 0B1312FA FF015512
	v_mul_f32_dpp v138, v18, v138 row_newbcast:6 row_mask:0xf bank_mask:0xf// 000000006708: 0B1514FA FF015612
	v_mul_f32_dpp v139, v18, v139 row_newbcast:7 row_mask:0xf bank_mask:0xf// 000000006710: 0B1716FA FF015712
	v_mul_f32_dpp v140, v18, v140 row_newbcast:4 row_mask:0xf bank_mask:0xf// 000000006718: 0B1918FA FF015412
	v_mul_f32_dpp v141, v18, v141 row_newbcast:5 row_mask:0xf bank_mask:0xf// 000000006720: 0B1B1AFA FF015512
	v_mul_f32_dpp v142, v18, v142 row_newbcast:6 row_mask:0xf bank_mask:0xf// 000000006728: 0B1D1CFA FF015612
	v_mul_f32_dpp v143, v18, v143 row_newbcast:7 row_mask:0xf bank_mask:0xf// 000000006730: 0B1F1EFA FF015712
	v_mul_f32_dpp v144, v18, v144 row_newbcast:8 row_mask:0xf bank_mask:0xf// 000000006738: 0B2120FA FF015812
	v_mul_f32_dpp v145, v18, v145 row_newbcast:9 row_mask:0xf bank_mask:0xf// 000000006740: 0B2322FA FF015912
	v_mul_f32_dpp v146, v18, v146 row_newbcast:10 row_mask:0xf bank_mask:0xf// 000000006748: 0B2524FA FF015A12
	v_mul_f32_dpp v147, v18, v147 row_newbcast:11 row_mask:0xf bank_mask:0xf// 000000006750: 0B2726FA FF015B12
	v_mul_f32_dpp v148, v18, v148 row_newbcast:8 row_mask:0xf bank_mask:0xf// 000000006758: 0B2928FA FF015812
	v_mul_f32_dpp v149, v18, v149 row_newbcast:9 row_mask:0xf bank_mask:0xf// 000000006760: 0B2B2AFA FF015912
	v_mul_f32_dpp v150, v18, v150 row_newbcast:10 row_mask:0xf bank_mask:0xf// 000000006768: 0B2D2CFA FF015A12
	v_mul_f32_dpp v151, v18, v151 row_newbcast:11 row_mask:0xf bank_mask:0xf// 000000006770: 0B2F2EFA FF015B12
	v_mul_f32_dpp v152, v18, v152 row_newbcast:12 row_mask:0xf bank_mask:0xf// 000000006778: 0B3130FA FF015C12
	v_mul_f32_dpp v153, v18, v153 row_newbcast:13 row_mask:0xf bank_mask:0xf// 000000006780: 0B3332FA FF015D12
	v_mul_f32_dpp v154, v18, v154 row_newbcast:14 row_mask:0xf bank_mask:0xf// 000000006788: 0B3534FA FF015E12
	v_mul_f32_dpp v155, v18, v155 row_newbcast:15 row_mask:0xf bank_mask:0xf// 000000006790: 0B3736FA FF015F12
	v_mul_f32_dpp v156, v18, v156 row_newbcast:12 row_mask:0xf bank_mask:0xf// 000000006798: 0B3938FA FF015C12
	v_mul_f32_dpp v157, v18, v157 row_newbcast:13 row_mask:0xf bank_mask:0xf// 0000000067A0: 0B3B3AFA FF015D12
	v_mul_f32_dpp v158, v18, v158 row_newbcast:14 row_mask:0xf bank_mask:0xf// 0000000067A8: 0B3D3CFA FF015E12
	v_mul_f32_dpp v159, v18, v159 row_newbcast:15 row_mask:0xf bank_mask:0xf// 0000000067B0: 0B3F3EFA FF015F12
	v_mul_f32_dpp v160, v19, v160 row_newbcast:0 row_mask:0xf bank_mask:0xf// 0000000067B8: 0B4140FA FF015013
	v_mul_f32_dpp v161, v19, v161 row_newbcast:1 row_mask:0xf bank_mask:0xf// 0000000067C0: 0B4342FA FF015113
	v_mul_f32_dpp v162, v19, v162 row_newbcast:2 row_mask:0xf bank_mask:0xf// 0000000067C8: 0B4544FA FF015213
	v_mul_f32_dpp v163, v19, v163 row_newbcast:3 row_mask:0xf bank_mask:0xf// 0000000067D0: 0B4746FA FF015313
	v_mul_f32_dpp v164, v19, v164 row_newbcast:0 row_mask:0xf bank_mask:0xf// 0000000067D8: 0B4948FA FF015013
	v_mul_f32_dpp v165, v19, v165 row_newbcast:1 row_mask:0xf bank_mask:0xf// 0000000067E0: 0B4B4AFA FF015113
	v_mul_f32_dpp v166, v19, v166 row_newbcast:2 row_mask:0xf bank_mask:0xf// 0000000067E8: 0B4D4CFA FF015213
	v_mul_f32_dpp v167, v19, v167 row_newbcast:3 row_mask:0xf bank_mask:0xf// 0000000067F0: 0B4F4EFA FF015313
	v_mul_f32_dpp v168, v19, v168 row_newbcast:4 row_mask:0xf bank_mask:0xf// 0000000067F8: 0B5150FA FF015413
	v_mul_f32_dpp v169, v19, v169 row_newbcast:5 row_mask:0xf bank_mask:0xf// 000000006800: 0B5352FA FF015513
	v_mul_f32_dpp v170, v19, v170 row_newbcast:6 row_mask:0xf bank_mask:0xf// 000000006808: 0B5554FA FF015613
	v_mul_f32_dpp v171, v19, v171 row_newbcast:7 row_mask:0xf bank_mask:0xf// 000000006810: 0B5756FA FF015713
	v_mul_f32_dpp v172, v19, v172 row_newbcast:4 row_mask:0xf bank_mask:0xf// 000000006818: 0B5958FA FF015413
	v_mul_f32_dpp v173, v19, v173 row_newbcast:5 row_mask:0xf bank_mask:0xf// 000000006820: 0B5B5AFA FF015513
	v_mul_f32_dpp v174, v19, v174 row_newbcast:6 row_mask:0xf bank_mask:0xf// 000000006828: 0B5D5CFA FF015613
	v_mul_f32_dpp v175, v19, v175 row_newbcast:7 row_mask:0xf bank_mask:0xf// 000000006830: 0B5F5EFA FF015713
	v_mul_f32_dpp v176, v19, v176 row_newbcast:8 row_mask:0xf bank_mask:0xf// 000000006838: 0B6160FA FF015813
	v_mul_f32_dpp v177, v19, v177 row_newbcast:9 row_mask:0xf bank_mask:0xf// 000000006840: 0B6362FA FF015913
	v_mul_f32_dpp v178, v19, v178 row_newbcast:10 row_mask:0xf bank_mask:0xf// 000000006848: 0B6564FA FF015A13
	v_mul_f32_dpp v179, v19, v179 row_newbcast:11 row_mask:0xf bank_mask:0xf// 000000006850: 0B6766FA FF015B13
	v_mul_f32_dpp v180, v19, v180 row_newbcast:8 row_mask:0xf bank_mask:0xf// 000000006858: 0B6968FA FF015813
	v_mul_f32_dpp v181, v19, v181 row_newbcast:9 row_mask:0xf bank_mask:0xf// 000000006860: 0B6B6AFA FF015913
	v_mul_f32_dpp v182, v19, v182 row_newbcast:10 row_mask:0xf bank_mask:0xf// 000000006868: 0B6D6CFA FF015A13
	v_mul_f32_dpp v183, v19, v183 row_newbcast:11 row_mask:0xf bank_mask:0xf// 000000006870: 0B6F6EFA FF015B13
	v_mul_f32_dpp v184, v19, v184 row_newbcast:12 row_mask:0xf bank_mask:0xf// 000000006878: 0B7170FA FF015C13
	v_mul_f32_dpp v185, v19, v185 row_newbcast:13 row_mask:0xf bank_mask:0xf// 000000006880: 0B7372FA FF015D13
	v_mul_f32_dpp v186, v19, v186 row_newbcast:14 row_mask:0xf bank_mask:0xf// 000000006888: 0B7574FA FF015E13
	v_mul_f32_dpp v187, v19, v187 row_newbcast:15 row_mask:0xf bank_mask:0xf// 000000006890: 0B7776FA FF015F13
	v_mul_f32_dpp v188, v19, v188 row_newbcast:12 row_mask:0xf bank_mask:0xf// 000000006898: 0B7978FA FF015C13
	v_mul_f32_dpp v189, v19, v189 row_newbcast:13 row_mask:0xf bank_mask:0xf// 0000000068A0: 0B7B7AFA FF015D13
	v_mul_f32_dpp v190, v19, v190 row_newbcast:14 row_mask:0xf bank_mask:0xf// 0000000068A8: 0B7D7CFA FF015E13
	v_mul_f32_dpp v191, v19, v191 row_newbcast:15 row_mask:0xf bank_mask:0xf// 0000000068B0: 0B7F7EFA FF015F13
	v_lshlrev_b32_e32 v52, 2, v0                               // 0000000068B8: 24680082
	s_mul_i32 s60, s82, s71                                    // 0000000068BC: 923C4752
	v_add_u32_e64 v80, v52, s60                                // 0000000068C0: D1340050 00007934
	v_mov_b32_e32 v81, 0                                       // 0000000068C8: 7EA20280
	s_mul_i32 s60, s83, s71                                    // 0000000068CC: 923C4753
	v_add_u32_e64 v82, v52, s60                                // 0000000068D0: D1340052 00007934
	v_mov_b32_e32 v83, 0                                       // 0000000068D8: 7EA60280
	s_mul_i32 s60, s84, s71                                    // 0000000068DC: 923C4754
	v_add_u32_e64 v84, v52, s60                                // 0000000068E0: D1340054 00007934
	v_mov_b32_e32 v85, 0                                       // 0000000068E8: 7EAA0280
	s_mul_i32 s60, s85, s71                                    // 0000000068EC: 923C4755
	v_add_u32_e64 v86, v52, s60                                // 0000000068F0: D1340056 00007934
	v_mov_b32_e32 v87, 0                                       // 0000000068F8: 7EAE0280
	s_mul_i32 s60, s86, s71                                    // 0000000068FC: 923C4756
	v_add_u32_e64 v88, v52, s60                                // 000000006900: D1340058 00007934
	v_mov_b32_e32 v89, 0                                       // 000000006908: 7EB20280
	s_mul_i32 s60, s87, s71                                    // 00000000690C: 923C4757
	v_add_u32_e64 v90, v52, s60                                // 000000006910: D134005A 00007934
	v_mov_b32_e32 v91, 0                                       // 000000006918: 7EB60280
	s_mul_i32 s60, s88, s71                                    // 00000000691C: 923C4758
	v_add_u32_e64 v92, v52, s60                                // 000000006920: D134005C 00007934
	v_mov_b32_e32 v93, 0                                       // 000000006928: 7EBA0280
	s_mul_i32 s60, s89, s71                                    // 00000000692C: 923C4759
	v_add_u32_e64 v94, v52, s60                                // 000000006930: D134005E 00007934
	v_mov_b32_e32 v95, 0                                       // 000000006938: 7EBE0280
	buffer_load_dword v12, v5, s[16:19], 0 offen               // 00000000693C: E0501000 80040C05
	v_mov_b32_e32 v22, 0x358637bd                              // 000000006944: 7E2C02FF 358637BD
	v_mov_b32_e32 v23, 0x358637bd                              // 00000000694C: 7E2E02FF 358637BD
	v_max3_f32 v22, |v128|, |v129|, v22                        // 000000006954: D1D30316 045B0380
	v_max3_f32 v22, |v130|, |v131|, v22                        // 00000000695C: D1D30316 045B0782
	v_max3_f32 v23, |v132|, |v133|, v23                        // 000000006964: D1D30317 045F0B84
	v_max3_f32 v23, |v134|, |v135|, v23                        // 00000000696C: D1D30317 045F0F86
	v_max3_f32 v22, |v136|, |v137|, v22                        // 000000006974: D1D30316 045B1388
	v_max3_f32 v22, |v138|, |v139|, v22                        // 00000000697C: D1D30316 045B178A
	v_max3_f32 v23, |v140|, |v141|, v23                        // 000000006984: D1D30317 045F1B8C
	v_max3_f32 v23, |v142|, |v143|, v23                        // 00000000698C: D1D30317 045F1F8E
	v_max3_f32 v22, |v144|, |v145|, v22                        // 000000006994: D1D30316 045B2390
	v_max3_f32 v22, |v146|, |v147|, v22                        // 00000000699C: D1D30316 045B2792
	v_max3_f32 v23, |v148|, |v149|, v23                        // 0000000069A4: D1D30317 045F2B94
	v_max3_f32 v23, |v150|, |v151|, v23                        // 0000000069AC: D1D30317 045F2F96
	v_max3_f32 v22, |v152|, |v153|, v22                        // 0000000069B4: D1D30316 045B3398
	v_max3_f32 v22, |v154|, |v155|, v22                        // 0000000069BC: D1D30316 045B379A
	v_max3_f32 v23, |v156|, |v157|, v23                        // 0000000069C4: D1D30317 045F3B9C
	v_max3_f32 v23, |v158|, |v159|, v23                        // 0000000069CC: D1D30317 045F3F9E
	v_max3_f32 v22, |v160|, |v161|, v22                        // 0000000069D4: D1D30316 045B43A0
	v_max3_f32 v22, |v162|, |v163|, v22                        // 0000000069DC: D1D30316 045B47A2
	v_max3_f32 v23, |v164|, |v165|, v23                        // 0000000069E4: D1D30317 045F4BA4
	v_max3_f32 v23, |v166|, |v167|, v23                        // 0000000069EC: D1D30317 045F4FA6
	v_max3_f32 v22, |v168|, |v169|, v22                        // 0000000069F4: D1D30316 045B53A8
	v_max3_f32 v22, |v170|, |v171|, v22                        // 0000000069FC: D1D30316 045B57AA
	v_max3_f32 v23, |v172|, |v173|, v23                        // 000000006A04: D1D30317 045F5BAC
	v_max3_f32 v23, |v174|, |v175|, v23                        // 000000006A0C: D1D30317 045F5FAE
	v_max3_f32 v22, |v176|, |v177|, v22                        // 000000006A14: D1D30316 045B63B0
	v_max3_f32 v22, |v178|, |v179|, v22                        // 000000006A1C: D1D30316 045B67B2
	v_max3_f32 v23, |v180|, |v181|, v23                        // 000000006A24: D1D30317 045F6BB4
	v_max3_f32 v23, |v182|, |v183|, v23                        // 000000006A2C: D1D30317 045F6FB6
	v_max3_f32 v22, |v184|, |v185|, v22                        // 000000006A34: D1D30316 045B73B8
	v_max3_f32 v22, |v186|, |v187|, v22                        // 000000006A3C: D1D30316 045B77BA
	v_max3_f32 v23, |v188|, |v189|, v23                        // 000000006A44: D1D30317 045F7BBC
	v_max3_f32 v23, |v190|, |v191|, v23                        // 000000006A4C: D1D30317 045F7FBE
	v_lshlrev_b32_e32 v52, 3, v0                               // 000000006A54: 24680083
	s_mul_i32 s60, 0x200, s7                                   // 000000006A58: 923C07FF 00000200
	v_add_u32_e32 v52, s60, v52                                // 000000006A60: 6868683C
	ds_write_b64 v52, v[22:23] offset:16640                    // 000000006A64: D89A4100 00001634
	s_waitcnt lgkmcnt(0)                                       // 000000006A6C: BF8CC07F
	s_barrier                                                  // 000000006A70: BF8A0000
	v_and_b32_e32 v52, 15, v0                                  // 000000006A74: 2668008F
	v_lshlrev_b32_e32 v52, 3, v52                              // 000000006A78: 24686883
	ds_read_b64 v[96:97], v52 offset:16640                     // 000000006A7C: D8EC4100 60000034
	ds_read_b64 v[98:99], v52 offset:16768                     // 000000006A84: D8EC4180 62000034
	ds_read_b64 v[100:101], v52 offset:16896                   // 000000006A8C: D8EC4200 64000034
	ds_read_b64 v[102:103], v52 offset:17024                   // 000000006A94: D8EC4280 66000034
	ds_read_b64 v[104:105], v52 offset:17152                   // 000000006A9C: D8EC4300 68000034
	ds_read_b64 v[106:107], v52 offset:17280                   // 000000006AA4: D8EC4380 6A000034
	ds_read_b64 v[108:109], v52 offset:17408                   // 000000006AAC: D8EC4400 6C000034
	ds_read_b64 v[110:111], v52 offset:17536                   // 000000006AB4: D8EC4480 6E000034
	ds_read_b64 v[112:113], v52 offset:17664                   // 000000006ABC: D8EC4500 70000034
	ds_read_b64 v[114:115], v52 offset:17792                   // 000000006AC4: D8EC4580 72000034
	ds_read_b64 v[116:117], v52 offset:17920                   // 000000006ACC: D8EC4600 74000034
	ds_read_b64 v[118:119], v52 offset:18048                   // 000000006AD4: D8EC4680 76000034
	ds_read_b64 v[120:121], v52 offset:18176                   // 000000006ADC: D8EC4700 78000034
	ds_read_b64 v[122:123], v52 offset:18304                   // 000000006AE4: D8EC4780 7A000034
	ds_read_b64 v[124:125], v52 offset:18432                   // 000000006AEC: D8EC4800 7C000034
	ds_read_b64 v[126:127], v52 offset:18560                   // 000000006AF4: D8EC4880 7E000034
	s_waitcnt lgkmcnt(0)                                       // 000000006AFC: BF8CC07F
	v_max3_f32 v22, |v96|, |v98|, v22                          // 000000006B00: D1D30316 045AC560
	v_max3_f32 v23, |v97|, |v99|, v23                          // 000000006B08: D1D30317 045EC761
	v_max3_f32 v22, |v100|, |v102|, v22                        // 000000006B10: D1D30316 045ACD64
	v_max3_f32 v23, |v101|, |v103|, v23                        // 000000006B18: D1D30317 045ECF65
	v_max3_f32 v22, |v104|, |v106|, v22                        // 000000006B20: D1D30316 045AD568
	v_max3_f32 v23, |v105|, |v107|, v23                        // 000000006B28: D1D30317 045ED769
	v_max3_f32 v22, |v108|, |v110|, v22                        // 000000006B30: D1D30316 045ADD6C
	v_max3_f32 v23, |v109|, |v111|, v23                        // 000000006B38: D1D30317 045EDF6D
	v_max3_f32 v22, |v112|, |v114|, v22                        // 000000006B40: D1D30316 045AE570
	v_max3_f32 v23, |v113|, |v115|, v23                        // 000000006B48: D1D30317 045EE771
	v_max3_f32 v22, |v116|, |v118|, v22                        // 000000006B50: D1D30316 045AED74
	v_max3_f32 v23, |v117|, |v119|, v23                        // 000000006B58: D1D30317 045EEF75
	v_max3_f32 v22, |v120|, |v122|, v22                        // 000000006B60: D1D30316 045AF578
	v_max3_f32 v23, |v121|, |v123|, v23                        // 000000006B68: D1D30317 045EF779
	v_max3_f32 v22, |v124|, |v126|, v22                        // 000000006B70: D1D30316 045AFD7C
	v_max3_f32 v23, |v125|, |v127|, v23                        // 000000006B78: D1D30317 045EFF7D
	v_rcp_f32_e32 v22, v22                                     // 000000006B80: 7E2C4516
	v_rcp_f32_e32 v23, v23                                     // 000000006B84: 7E2E4517
	v_mul_f32_e32 v22, 0x42fe0000, v22                         // 000000006B88: 0A2C2CFF 42FE0000
	v_mul_f32_e32 v23, 0x42fe0000, v23                         // 000000006B90: 0A2E2EFF 42FE0000
	v_mul_f32_e32 v128, v22, v128                              // 000000006B98: 0B010116
	v_mul_f32_e32 v129, v22, v129                              // 000000006B9C: 0B030316
	v_mul_f32_e32 v130, v22, v130                              // 000000006BA0: 0B050516
	v_mul_f32_e32 v131, v22, v131                              // 000000006BA4: 0B070716
	v_cvt_i32_f32_e32 v128, v128                               // 000000006BA8: 7F001180
	v_cvt_i32_f32_e32 v129, v129                               // 000000006BAC: 7F021181
	v_cvt_i32_f32_e32 v130, v130                               // 000000006BB0: 7F041182
	v_cvt_i32_f32_e32 v131, v131                               // 000000006BB4: 7F061183
	v_perm_b32 v128, v129, v128, s53                           // 000000006BB8: D1ED0080 00D70181
	v_perm_b32 v128, v130, v128, s54                           // 000000006BC0: D1ED0080 00DB0182
	v_perm_b32 v128, v131, v128, s55                           // 000000006BC8: D1ED0080 00DF0183
	v_mul_f32_e32 v132, v23, v132                              // 000000006BD0: 0B090917
	v_mul_f32_e32 v133, v23, v133                              // 000000006BD4: 0B0B0B17
	v_mul_f32_e32 v134, v23, v134                              // 000000006BD8: 0B0D0D17
	v_mul_f32_e32 v135, v23, v135                              // 000000006BDC: 0B0F0F17
	v_cvt_i32_f32_e32 v132, v132                               // 000000006BE0: 7F081184
	v_cvt_i32_f32_e32 v133, v133                               // 000000006BE4: 7F0A1185
	v_cvt_i32_f32_e32 v134, v134                               // 000000006BE8: 7F0C1186
	v_cvt_i32_f32_e32 v135, v135                               // 000000006BEC: 7F0E1187
	v_perm_b32 v129, v133, v132, s53                           // 000000006BF0: D1ED0081 00D70985
	v_perm_b32 v129, v134, v129, s54                           // 000000006BF8: D1ED0081 00DB0386
	v_perm_b32 v129, v135, v129, s55                           // 000000006C00: D1ED0081 00DF0387
	v_mul_f32_e32 v136, v22, v136                              // 000000006C08: 0B111116
	v_mul_f32_e32 v137, v22, v137                              // 000000006C0C: 0B131316
	v_mul_f32_e32 v138, v22, v138                              // 000000006C10: 0B151516
	v_mul_f32_e32 v139, v22, v139                              // 000000006C14: 0B171716
	v_cvt_i32_f32_e32 v136, v136                               // 000000006C18: 7F101188
	v_cvt_i32_f32_e32 v137, v137                               // 000000006C1C: 7F121189
	v_cvt_i32_f32_e32 v138, v138                               // 000000006C20: 7F14118A
	v_cvt_i32_f32_e32 v139, v139                               // 000000006C24: 7F16118B
	v_perm_b32 v130, v137, v136, s53                           // 000000006C28: D1ED0082 00D71189
	v_perm_b32 v130, v138, v130, s54                           // 000000006C30: D1ED0082 00DB058A
	v_perm_b32 v130, v139, v130, s55                           // 000000006C38: D1ED0082 00DF058B
	v_mul_f32_e32 v140, v23, v140                              // 000000006C40: 0B191917
	v_mul_f32_e32 v141, v23, v141                              // 000000006C44: 0B1B1B17
	v_mul_f32_e32 v142, v23, v142                              // 000000006C48: 0B1D1D17
	v_mul_f32_e32 v143, v23, v143                              // 000000006C4C: 0B1F1F17
	v_cvt_i32_f32_e32 v140, v140                               // 000000006C50: 7F18118C
	v_cvt_i32_f32_e32 v141, v141                               // 000000006C54: 7F1A118D
	v_cvt_i32_f32_e32 v142, v142                               // 000000006C58: 7F1C118E
	v_cvt_i32_f32_e32 v143, v143                               // 000000006C5C: 7F1E118F
	v_perm_b32 v131, v141, v140, s53                           // 000000006C60: D1ED0083 00D7198D
	v_perm_b32 v131, v142, v131, s54                           // 000000006C68: D1ED0083 00DB078E
	v_perm_b32 v131, v143, v131, s55                           // 000000006C70: D1ED0083 00DF078F
	v_mul_f32_e32 v144, v22, v144                              // 000000006C78: 0B212116
	v_mul_f32_e32 v145, v22, v145                              // 000000006C7C: 0B232316
	v_mul_f32_e32 v146, v22, v146                              // 000000006C80: 0B252516
	v_mul_f32_e32 v147, v22, v147                              // 000000006C84: 0B272716
	v_cvt_i32_f32_e32 v144, v144                               // 000000006C88: 7F201190
	v_cvt_i32_f32_e32 v145, v145                               // 000000006C8C: 7F221191
	v_cvt_i32_f32_e32 v146, v146                               // 000000006C90: 7F241192
	v_cvt_i32_f32_e32 v147, v147                               // 000000006C94: 7F261193
	v_perm_b32 v132, v145, v144, s53                           // 000000006C98: D1ED0084 00D72191
	v_perm_b32 v132, v146, v132, s54                           // 000000006CA0: D1ED0084 00DB0992
	v_perm_b32 v132, v147, v132, s55                           // 000000006CA8: D1ED0084 00DF0993
	v_mul_f32_e32 v148, v23, v148                              // 000000006CB0: 0B292917
	v_mul_f32_e32 v149, v23, v149                              // 000000006CB4: 0B2B2B17
	v_mul_f32_e32 v150, v23, v150                              // 000000006CB8: 0B2D2D17
	v_mul_f32_e32 v151, v23, v151                              // 000000006CBC: 0B2F2F17
	v_cvt_i32_f32_e32 v148, v148                               // 000000006CC0: 7F281194
	v_cvt_i32_f32_e32 v149, v149                               // 000000006CC4: 7F2A1195
	v_cvt_i32_f32_e32 v150, v150                               // 000000006CC8: 7F2C1196
	v_cvt_i32_f32_e32 v151, v151                               // 000000006CCC: 7F2E1197
	v_perm_b32 v133, v149, v148, s53                           // 000000006CD0: D1ED0085 00D72995
	v_perm_b32 v133, v150, v133, s54                           // 000000006CD8: D1ED0085 00DB0B96
	v_perm_b32 v133, v151, v133, s55                           // 000000006CE0: D1ED0085 00DF0B97
	v_mul_f32_e32 v152, v22, v152                              // 000000006CE8: 0B313116
	v_mul_f32_e32 v153, v22, v153                              // 000000006CEC: 0B333316
	v_mul_f32_e32 v154, v22, v154                              // 000000006CF0: 0B353516
	v_mul_f32_e32 v155, v22, v155                              // 000000006CF4: 0B373716
	v_cvt_i32_f32_e32 v152, v152                               // 000000006CF8: 7F301198
	v_cvt_i32_f32_e32 v153, v153                               // 000000006CFC: 7F321199
	v_cvt_i32_f32_e32 v154, v154                               // 000000006D00: 7F34119A
	v_cvt_i32_f32_e32 v155, v155                               // 000000006D04: 7F36119B
	v_perm_b32 v134, v153, v152, s53                           // 000000006D08: D1ED0086 00D73199
	v_perm_b32 v134, v154, v134, s54                           // 000000006D10: D1ED0086 00DB0D9A
	v_perm_b32 v134, v155, v134, s55                           // 000000006D18: D1ED0086 00DF0D9B
	v_mul_f32_e32 v156, v23, v156                              // 000000006D20: 0B393917
	v_mul_f32_e32 v157, v23, v157                              // 000000006D24: 0B3B3B17
	v_mul_f32_e32 v158, v23, v158                              // 000000006D28: 0B3D3D17
	v_mul_f32_e32 v159, v23, v159                              // 000000006D2C: 0B3F3F17
	v_cvt_i32_f32_e32 v156, v156                               // 000000006D30: 7F38119C
	v_cvt_i32_f32_e32 v157, v157                               // 000000006D34: 7F3A119D
	v_cvt_i32_f32_e32 v158, v158                               // 000000006D38: 7F3C119E
	v_cvt_i32_f32_e32 v159, v159                               // 000000006D3C: 7F3E119F
	v_perm_b32 v135, v157, v156, s53                           // 000000006D40: D1ED0087 00D7399D
	v_perm_b32 v135, v158, v135, s54                           // 000000006D48: D1ED0087 00DB0F9E
	v_perm_b32 v135, v159, v135, s55                           // 000000006D50: D1ED0087 00DF0F9F
	v_mul_f32_e32 v160, v22, v160                              // 000000006D58: 0B414116
	v_mul_f32_e32 v161, v22, v161                              // 000000006D5C: 0B434316
	v_mul_f32_e32 v162, v22, v162                              // 000000006D60: 0B454516
	v_mul_f32_e32 v163, v22, v163                              // 000000006D64: 0B474716
	v_cvt_i32_f32_e32 v160, v160                               // 000000006D68: 7F4011A0
	v_cvt_i32_f32_e32 v161, v161                               // 000000006D6C: 7F4211A1
	v_cvt_i32_f32_e32 v162, v162                               // 000000006D70: 7F4411A2
	v_cvt_i32_f32_e32 v163, v163                               // 000000006D74: 7F4611A3
	v_perm_b32 v136, v161, v160, s53                           // 000000006D78: D1ED0088 00D741A1
	v_perm_b32 v136, v162, v136, s54                           // 000000006D80: D1ED0088 00DB11A2
	v_perm_b32 v136, v163, v136, s55                           // 000000006D88: D1ED0088 00DF11A3
	v_mul_f32_e32 v164, v23, v164                              // 000000006D90: 0B494917
	v_mul_f32_e32 v165, v23, v165                              // 000000006D94: 0B4B4B17
	v_mul_f32_e32 v166, v23, v166                              // 000000006D98: 0B4D4D17
	v_mul_f32_e32 v167, v23, v167                              // 000000006D9C: 0B4F4F17
	v_cvt_i32_f32_e32 v164, v164                               // 000000006DA0: 7F4811A4
	v_cvt_i32_f32_e32 v165, v165                               // 000000006DA4: 7F4A11A5
	v_cvt_i32_f32_e32 v166, v166                               // 000000006DA8: 7F4C11A6
	v_cvt_i32_f32_e32 v167, v167                               // 000000006DAC: 7F4E11A7
	v_perm_b32 v137, v165, v164, s53                           // 000000006DB0: D1ED0089 00D749A5
	v_perm_b32 v137, v166, v137, s54                           // 000000006DB8: D1ED0089 00DB13A6
	v_perm_b32 v137, v167, v137, s55                           // 000000006DC0: D1ED0089 00DF13A7
	v_mul_f32_e32 v168, v22, v168                              // 000000006DC8: 0B515116
	v_mul_f32_e32 v169, v22, v169                              // 000000006DCC: 0B535316
	v_mul_f32_e32 v170, v22, v170                              // 000000006DD0: 0B555516
	v_mul_f32_e32 v171, v22, v171                              // 000000006DD4: 0B575716
	v_cvt_i32_f32_e32 v168, v168                               // 000000006DD8: 7F5011A8
	v_cvt_i32_f32_e32 v169, v169                               // 000000006DDC: 7F5211A9
	v_cvt_i32_f32_e32 v170, v170                               // 000000006DE0: 7F5411AA
	v_cvt_i32_f32_e32 v171, v171                               // 000000006DE4: 7F5611AB
	v_perm_b32 v138, v169, v168, s53                           // 000000006DE8: D1ED008A 00D751A9
	v_perm_b32 v138, v170, v138, s54                           // 000000006DF0: D1ED008A 00DB15AA
	v_perm_b32 v138, v171, v138, s55                           // 000000006DF8: D1ED008A 00DF15AB
	v_mul_f32_e32 v172, v23, v172                              // 000000006E00: 0B595917
	v_mul_f32_e32 v173, v23, v173                              // 000000006E04: 0B5B5B17
	v_mul_f32_e32 v174, v23, v174                              // 000000006E08: 0B5D5D17
	v_mul_f32_e32 v175, v23, v175                              // 000000006E0C: 0B5F5F17
	v_cvt_i32_f32_e32 v172, v172                               // 000000006E10: 7F5811AC
	v_cvt_i32_f32_e32 v173, v173                               // 000000006E14: 7F5A11AD
	v_cvt_i32_f32_e32 v174, v174                               // 000000006E18: 7F5C11AE
	v_cvt_i32_f32_e32 v175, v175                               // 000000006E1C: 7F5E11AF
	v_perm_b32 v139, v173, v172, s53                           // 000000006E20: D1ED008B 00D759AD
	v_perm_b32 v139, v174, v139, s54                           // 000000006E28: D1ED008B 00DB17AE
	v_perm_b32 v139, v175, v139, s55                           // 000000006E30: D1ED008B 00DF17AF
	v_mul_f32_e32 v176, v22, v176                              // 000000006E38: 0B616116
	v_mul_f32_e32 v177, v22, v177                              // 000000006E3C: 0B636316
	v_mul_f32_e32 v178, v22, v178                              // 000000006E40: 0B656516
	v_mul_f32_e32 v179, v22, v179                              // 000000006E44: 0B676716
	v_cvt_i32_f32_e32 v176, v176                               // 000000006E48: 7F6011B0
	v_cvt_i32_f32_e32 v177, v177                               // 000000006E4C: 7F6211B1
	v_cvt_i32_f32_e32 v178, v178                               // 000000006E50: 7F6411B2
	v_cvt_i32_f32_e32 v179, v179                               // 000000006E54: 7F6611B3
	v_perm_b32 v140, v177, v176, s53                           // 000000006E58: D1ED008C 00D761B1
	v_perm_b32 v140, v178, v140, s54                           // 000000006E60: D1ED008C 00DB19B2
	v_perm_b32 v140, v179, v140, s55                           // 000000006E68: D1ED008C 00DF19B3
	v_mul_f32_e32 v180, v23, v180                              // 000000006E70: 0B696917
	v_mul_f32_e32 v181, v23, v181                              // 000000006E74: 0B6B6B17
	v_mul_f32_e32 v182, v23, v182                              // 000000006E78: 0B6D6D17
	v_mul_f32_e32 v183, v23, v183                              // 000000006E7C: 0B6F6F17
	v_cvt_i32_f32_e32 v180, v180                               // 000000006E80: 7F6811B4
	v_cvt_i32_f32_e32 v181, v181                               // 000000006E84: 7F6A11B5
	v_cvt_i32_f32_e32 v182, v182                               // 000000006E88: 7F6C11B6
	v_cvt_i32_f32_e32 v183, v183                               // 000000006E8C: 7F6E11B7
	v_perm_b32 v141, v181, v180, s53                           // 000000006E90: D1ED008D 00D769B5
	v_perm_b32 v141, v182, v141, s54                           // 000000006E98: D1ED008D 00DB1BB6
	v_perm_b32 v141, v183, v141, s55                           // 000000006EA0: D1ED008D 00DF1BB7
	v_mul_f32_e32 v184, v22, v184                              // 000000006EA8: 0B717116
	v_mul_f32_e32 v185, v22, v185                              // 000000006EAC: 0B737316
	v_mul_f32_e32 v186, v22, v186                              // 000000006EB0: 0B757516
	v_mul_f32_e32 v187, v22, v187                              // 000000006EB4: 0B777716
	v_cvt_i32_f32_e32 v184, v184                               // 000000006EB8: 7F7011B8
	v_cvt_i32_f32_e32 v185, v185                               // 000000006EBC: 7F7211B9
	v_cvt_i32_f32_e32 v186, v186                               // 000000006EC0: 7F7411BA
	v_cvt_i32_f32_e32 v187, v187                               // 000000006EC4: 7F7611BB
	v_perm_b32 v142, v185, v184, s53                           // 000000006EC8: D1ED008E 00D771B9
	v_perm_b32 v142, v186, v142, s54                           // 000000006ED0: D1ED008E 00DB1DBA
	v_perm_b32 v142, v187, v142, s55                           // 000000006ED8: D1ED008E 00DF1DBB
	v_mul_f32_e32 v188, v23, v188                              // 000000006EE0: 0B797917
	v_mul_f32_e32 v189, v23, v189                              // 000000006EE4: 0B7B7B17
	v_mul_f32_e32 v190, v23, v190                              // 000000006EE8: 0B7D7D17
	v_mul_f32_e32 v191, v23, v191                              // 000000006EEC: 0B7F7F17
	v_cvt_i32_f32_e32 v188, v188                               // 000000006EF0: 7F7811BC
	v_cvt_i32_f32_e32 v189, v189                               // 000000006EF4: 7F7A11BD
	v_cvt_i32_f32_e32 v190, v190                               // 000000006EF8: 7F7C11BE
	v_cvt_i32_f32_e32 v191, v191                               // 000000006EFC: 7F7E11BF
	v_perm_b32 v143, v189, v188, s53                           // 000000006F00: D1ED008F 00D779BD
	v_perm_b32 v143, v190, v143, s54                           // 000000006F08: D1ED008F 00DB1FBE
	v_perm_b32 v143, v191, v143, s55                           // 000000006F10: D1ED008F 00DF1FBF
	v_rcp_f32_e32 v24, v22                                     // 000000006F18: 7E304516
	v_rcp_f32_e32 v25, v23                                     // 000000006F1C: 7E324517
	v_lshrrev_b32_e32 v52, 5, v0                               // 000000006F20: 20680085
	v_lshlrev_b32_e32 v53, 5, v52                              // 000000006F24: 246A6885
	v_and_b32_e32 v52, 31, v0                                  // 000000006F28: 2668009F
	v_lshrrev_b32_e32 v54, 4, v52                              // 000000006F2C: 206C6884
	v_add_u32_e32 v53, v54, v53                                // 000000006F30: 686A6B36
	v_and_b32_e32 v52, 15, v0                                  // 000000006F34: 2668008F
	v_lshlrev_b32_e32 v52, 1, v52                              // 000000006F38: 24686881
	v_add_u32_e32 v53, v52, v53                                // 000000006F3C: 686A6B34
	v_lshlrev_b32_e32 v52, 2, v53                              // 000000006F40: 24686A82
	s_mul_i32 s60, 0x100, s7                                   // 000000006F44: 923C07FF 00000100
	v_add_u32_e64 v52, v52, s60                                // 000000006F4C: D1340034 00007934
	ds_write_b32 v52, v128 offset:18688                        // 000000006F54: D81A4900 00008034
	ds_write_b32 v52, v129 offset:26880                        // 000000006F5C: D81A6900 00008134
	ds_write_b32 v52, v130 offset:19712                        // 000000006F64: D81A4D00 00008234
	ds_write_b32 v52, v131 offset:27904                        // 000000006F6C: D81A6D00 00008334
	ds_write_b32 v52, v132 offset:20736                        // 000000006F74: D81A5100 00008434
	ds_write_b32 v52, v133 offset:28928                        // 000000006F7C: D81A7100 00008534
	ds_write_b32 v52, v134 offset:21760                        // 000000006F84: D81A5500 00008634
	ds_write_b32 v52, v135 offset:29952                        // 000000006F8C: D81A7500 00008734
	ds_write_b32 v52, v136 offset:22784                        // 000000006F94: D81A5900 00008834
	ds_write_b32 v52, v137 offset:30976                        // 000000006F9C: D81A7900 00008934
	ds_write_b32 v52, v138 offset:23808                        // 000000006FA4: D81A5D00 00008A34
	ds_write_b32 v52, v139 offset:32000                        // 000000006FAC: D81A7D00 00008B34
	ds_write_b32 v52, v140 offset:24832                        // 000000006FB4: D81A6100 00008C34
	ds_write_b32 v52, v141 offset:33024                        // 000000006FBC: D81A8100 00008D34
	ds_write_b32 v52, v142 offset:25856                        // 000000006FC4: D81A6500 00008E34
	ds_write_b32 v52, v143 offset:34048                        // 000000006FCC: D81A8500 00008F34
	s_waitcnt lgkmcnt(0)                                       // 000000006FD4: BF8CC07F
	s_barrier                                                  // 000000006FD8: BF8A0000
	v_lshrrev_b32_e32 v52, 4, v0                               // 000000006FDC: 20680084
	v_lshlrev_b32_e32 v53, 6, v52                              // 000000006FE0: 246A6886
	v_and_b32_e32 v52, 15, v0                                  // 000000006FE4: 2668008F
	v_lshlrev_b32_e32 v52, 1, v52                              // 000000006FE8: 24686881
	v_add_u32_e32 v53, v52, v53                                // 000000006FEC: 686A6B34
	v_lshlrev_b32_e32 v52, 2, v53                              // 000000006FF0: 24686A82
	ds_read_b64 v[128:129], v52 offset:18688                   // 000000006FF4: D8EC4900 80000034
	ds_read_b64 v[130:131], v52 offset:18816                   // 000000006FFC: D8EC4980 82000034
	ds_read_b64 v[132:133], v52 offset:19712                   // 000000007004: D8EC4D00 84000034
	ds_read_b64 v[134:135], v52 offset:19840                   // 00000000700C: D8EC4D80 86000034
	ds_read_b64 v[136:137], v52 offset:20736                   // 000000007014: D8EC5100 88000034
	ds_read_b64 v[138:139], v52 offset:20864                   // 00000000701C: D8EC5180 8A000034
	ds_read_b64 v[140:141], v52 offset:21760                   // 000000007024: D8EC5500 8C000034
	ds_read_b64 v[142:143], v52 offset:21888                   // 00000000702C: D8EC5580 8E000034
	ds_read_b64 v[144:145], v52 offset:22784                   // 000000007034: D8EC5900 90000034
	ds_read_b64 v[146:147], v52 offset:22912                   // 00000000703C: D8EC5980 92000034
	ds_read_b64 v[148:149], v52 offset:23808                   // 000000007044: D8EC5D00 94000034
	ds_read_b64 v[150:151], v52 offset:23936                   // 00000000704C: D8EC5D80 96000034
	ds_read_b64 v[152:153], v52 offset:24832                   // 000000007054: D8EC6100 98000034
	ds_read_b64 v[154:155], v52 offset:24960                   // 00000000705C: D8EC6180 9A000034
	ds_read_b64 v[156:157], v52 offset:25856                   // 000000007064: D8EC6500 9C000034
	ds_read_b64 v[158:159], v52 offset:25984                   // 00000000706C: D8EC6580 9E000034
	ds_read_b64 v[160:161], v52 offset:26880                   // 000000007074: D8EC6900 A0000034
	ds_read_b64 v[162:163], v52 offset:27008                   // 00000000707C: D8EC6980 A2000034
	ds_read_b64 v[164:165], v52 offset:27904                   // 000000007084: D8EC6D00 A4000034
	ds_read_b64 v[166:167], v52 offset:28032                   // 00000000708C: D8EC6D80 A6000034
	ds_read_b64 v[168:169], v52 offset:28928                   // 000000007094: D8EC7100 A8000034
	ds_read_b64 v[170:171], v52 offset:29056                   // 00000000709C: D8EC7180 AA000034
	ds_read_b64 v[172:173], v52 offset:29952                   // 0000000070A4: D8EC7500 AC000034
	ds_read_b64 v[174:175], v52 offset:30080                   // 0000000070AC: D8EC7580 AE000034
	ds_read_b64 v[176:177], v52 offset:30976                   // 0000000070B4: D8EC7900 B0000034
	ds_read_b64 v[178:179], v52 offset:31104                   // 0000000070BC: D8EC7980 B2000034
	ds_read_b64 v[180:181], v52 offset:32000                   // 0000000070C4: D8EC7D00 B4000034
	ds_read_b64 v[182:183], v52 offset:32128                   // 0000000070CC: D8EC7D80 B6000034
	ds_read_b64 v[184:185], v52 offset:33024                   // 0000000070D4: D8EC8100 B8000034
	ds_read_b64 v[186:187], v52 offset:33152                   // 0000000070DC: D8EC8180 BA000034
	ds_read_b64 v[188:189], v52 offset:34048                   // 0000000070E4: D8EC8500 BC000034
	ds_read_b64 v[190:191], v52 offset:34176                   // 0000000070EC: D8EC8580 BE000034
	s_add_u32 s12, s56, s12                                    // 0000000070F4: 800C0C38
	s_addc_u32 s13, 0, s13                                     // 0000000070F8: 820D0D80
	s_add_u32 s16, s79, s16                                    // 0000000070FC: 8010104F
	s_addc_u32 s17, 0, s17                                     // 000000007100: 82111180
	s_mov_b32 s80, 0                                           // 000000007104: BED00080
	s_waitcnt vmcnt(0) expcnt(0) lgkmcnt(0)                    // 000000007108: BF8C0000

000000000000710c <label_10C3>:
	s_waitcnt vmcnt(45)                                        // 00000000710C: BF8C8F7D
	s_barrier                                                  // 000000007110: BF8A0000
	v_mfma_i32_16x16x32_i8 v[192:195], a[0:1], v[128:129], 0   // 000000007114: D3D700C0 0A030100
	v_mfma_i32_16x16x32_i8 v[192:195], a[2:3], v[130:131], v[192:195]// 00000000711C: D3D700C0 0F030502
	buffer_load_dwordx4 a[128:131], v42, s[12:15], 0 offen     // 000000007124: E05C1000 8083802A
	v_mfma_i32_16x16x32_i8 v[196:199], a[0:1], v[160:161], 0   // 00000000712C: D3D700C4 0A034100
	v_mfma_i32_16x16x32_i8 v[196:199], a[2:3], v[162:163], v[196:199]// 000000007134: D3D700C4 0F134502
	v_mfma_i32_16x16x32_i8 v[200:203], a[4:5], v[128:129], 0   // 00000000713C: D3D700C8 0A030104
	v_mfma_i32_16x16x32_i8 v[200:203], a[6:7], v[130:131], v[200:203]// 000000007144: D3D700C8 0F230506
	buffer_load_dwordx4 a[132:135], v43, s[12:15], 0 offen     // 00000000714C: E05C1000 8083842B
	v_mfma_i32_16x16x32_i8 v[204:207], a[4:5], v[160:161], 0   // 000000007154: D3D700CC 0A034104
	v_mfma_i32_16x16x32_i8 v[204:207], a[6:7], v[162:163], v[204:207]// 00000000715C: D3D700CC 0F334506
	v_mfma_i32_16x16x32_i8 v[208:211], a[8:9], v[128:129], 0   // 000000007164: D3D700D0 0A030108
	v_mfma_i32_16x16x32_i8 v[208:211], a[10:11], v[130:131], v[208:211]// 00000000716C: D3D700D0 0F43050A
	buffer_load_dwordx4 a[136:139], v44, s[12:15], 0 offen     // 000000007174: E05C1000 8083882C
	v_mfma_i32_16x16x32_i8 v[212:215], a[8:9], v[160:161], 0   // 00000000717C: D3D700D4 0A034108
	v_mfma_i32_16x16x32_i8 v[212:215], a[10:11], v[162:163], v[212:215]// 000000007184: D3D700D4 0F53450A
	v_mfma_i32_16x16x32_i8 v[216:219], a[12:13], v[128:129], 0 // 00000000718C: D3D700D8 0A03010C
	v_mfma_i32_16x16x32_i8 v[216:219], a[14:15], v[130:131], v[216:219]// 000000007194: D3D700D8 0F63050E
	buffer_load_dwordx4 a[140:143], v45, s[12:15], 0 offen     // 00000000719C: E05C1000 80838C2D
	s_add_u32 s12, s78, s12                                    // 0000000071A4: 800C0C4E
	s_addc_u32 s13, 0, s13                                     // 0000000071A8: 820D0D80
	v_mfma_i32_16x16x32_i8 v[220:223], a[12:13], v[160:161], 0 // 0000000071AC: D3D700DC 0A03410C
	v_mfma_i32_16x16x32_i8 v[220:223], a[14:15], v[162:163], v[220:223]// 0000000071B4: D3D700DC 0F73450E
	s_waitcnt vmcnt(45)                                        // 0000000071BC: BF8C8F7D
	v_mfma_i32_16x16x32_i8 v[192:195], a[16:17], v[132:133], v[192:195]// 0000000071C0: D3D700C0 0F030910
	v_mfma_i32_16x16x32_i8 v[192:195], a[18:19], v[134:135], v[192:195]// 0000000071C8: D3D700C0 0F030D12
	buffer_load_dwordx4 a[144:147], v42, s[12:15], 0 offen     // 0000000071D0: E05C1000 8083902A
	v_mfma_i32_16x16x32_i8 v[196:199], a[16:17], v[164:165], v[196:199]// 0000000071D8: D3D700C4 0F134910
	v_mfma_i32_16x16x32_i8 v[196:199], a[18:19], v[166:167], v[196:199]// 0000000071E0: D3D700C4 0F134D12
	v_mfma_i32_16x16x32_i8 v[200:203], a[20:21], v[132:133], v[200:203]// 0000000071E8: D3D700C8 0F230914
	v_mfma_i32_16x16x32_i8 v[200:203], a[22:23], v[134:135], v[200:203]// 0000000071F0: D3D700C8 0F230D16
	buffer_load_dwordx4 a[148:151], v43, s[12:15], 0 offen     // 0000000071F8: E05C1000 8083942B
	v_mfma_i32_16x16x32_i8 v[204:207], a[20:21], v[164:165], v[204:207]// 000000007200: D3D700CC 0F334914
	v_mfma_i32_16x16x32_i8 v[204:207], a[22:23], v[166:167], v[204:207]// 000000007208: D3D700CC 0F334D16
	v_mfma_i32_16x16x32_i8 v[208:211], a[24:25], v[132:133], v[208:211]// 000000007210: D3D700D0 0F430918
	v_mfma_i32_16x16x32_i8 v[208:211], a[26:27], v[134:135], v[208:211]// 000000007218: D3D700D0 0F430D1A
	buffer_load_dwordx4 a[152:155], v44, s[12:15], 0 offen     // 000000007220: E05C1000 8083982C
	v_mfma_i32_16x16x32_i8 v[212:215], a[24:25], v[164:165], v[212:215]// 000000007228: D3D700D4 0F534918
	v_mfma_i32_16x16x32_i8 v[212:215], a[26:27], v[166:167], v[212:215]// 000000007230: D3D700D4 0F534D1A
	v_mfma_i32_16x16x32_i8 v[216:219], a[28:29], v[132:133], v[216:219]// 000000007238: D3D700D8 0F63091C
	v_mfma_i32_16x16x32_i8 v[216:219], a[30:31], v[134:135], v[216:219]// 000000007240: D3D700D8 0F630D1E
	buffer_load_dwordx4 a[156:159], v45, s[12:15], 0 offen     // 000000007248: E05C1000 80839C2D
	s_add_u32 s12, s78, s12                                    // 000000007250: 800C0C4E
	s_addc_u32 s13, 0, s13                                     // 000000007254: 820D0D80
	v_mfma_i32_16x16x32_i8 v[220:223], a[28:29], v[164:165], v[220:223]// 000000007258: D3D700DC 0F73491C
	v_mfma_i32_16x16x32_i8 v[220:223], a[30:31], v[166:167], v[220:223]// 000000007260: D3D700DC 0F734D1E
	s_waitcnt vmcnt(45)                                        // 000000007268: BF8C8F7D
	v_mfma_i32_16x16x32_i8 v[192:195], a[32:33], v[136:137], v[192:195]// 00000000726C: D3D700C0 0F031120
	v_mfma_i32_16x16x32_i8 v[192:195], a[34:35], v[138:139], v[192:195]// 000000007274: D3D700C0 0F031522
	buffer_load_dwordx4 a[160:163], v42, s[12:15], 0 offen     // 00000000727C: E05C1000 8083A02A
	v_mfma_i32_16x16x32_i8 v[196:199], a[32:33], v[168:169], v[196:199]// 000000007284: D3D700C4 0F135120
	v_mfma_i32_16x16x32_i8 v[196:199], a[34:35], v[170:171], v[196:199]// 00000000728C: D3D700C4 0F135522
	v_mfma_i32_16x16x32_i8 v[200:203], a[36:37], v[136:137], v[200:203]// 000000007294: D3D700C8 0F231124
	v_mfma_i32_16x16x32_i8 v[200:203], a[38:39], v[138:139], v[200:203]// 00000000729C: D3D700C8 0F231526
	buffer_load_dwordx4 a[164:167], v43, s[12:15], 0 offen     // 0000000072A4: E05C1000 8083A42B
	v_mfma_i32_16x16x32_i8 v[204:207], a[36:37], v[168:169], v[204:207]// 0000000072AC: D3D700CC 0F335124
	v_mfma_i32_16x16x32_i8 v[204:207], a[38:39], v[170:171], v[204:207]// 0000000072B4: D3D700CC 0F335526
	v_mfma_i32_16x16x32_i8 v[208:211], a[40:41], v[136:137], v[208:211]// 0000000072BC: D3D700D0 0F431128
	v_mfma_i32_16x16x32_i8 v[208:211], a[42:43], v[138:139], v[208:211]// 0000000072C4: D3D700D0 0F43152A
	buffer_load_dwordx4 a[168:171], v44, s[12:15], 0 offen     // 0000000072CC: E05C1000 8083A82C
	v_mfma_i32_16x16x32_i8 v[212:215], a[40:41], v[168:169], v[212:215]// 0000000072D4: D3D700D4 0F535128
	v_mfma_i32_16x16x32_i8 v[212:215], a[42:43], v[170:171], v[212:215]// 0000000072DC: D3D700D4 0F53552A
	v_mfma_i32_16x16x32_i8 v[216:219], a[44:45], v[136:137], v[216:219]// 0000000072E4: D3D700D8 0F63112C
	v_mfma_i32_16x16x32_i8 v[216:219], a[46:47], v[138:139], v[216:219]// 0000000072EC: D3D700D8 0F63152E
	buffer_load_dwordx4 a[172:175], v45, s[12:15], 0 offen     // 0000000072F4: E05C1000 8083AC2D
	s_add_u32 s12, s78, s12                                    // 0000000072FC: 800C0C4E
	s_addc_u32 s13, 0, s13                                     // 000000007300: 820D0D80
	v_mfma_i32_16x16x32_i8 v[220:223], a[44:45], v[168:169], v[220:223]// 000000007304: D3D700DC 0F73512C
	v_mfma_i32_16x16x32_i8 v[220:223], a[46:47], v[170:171], v[220:223]// 00000000730C: D3D700DC 0F73552E
	s_waitcnt vmcnt(45)                                        // 000000007314: BF8C8F7D
	v_mfma_i32_16x16x32_i8 v[192:195], a[48:49], v[140:141], v[192:195]// 000000007318: D3D700C0 0F031930
	v_mfma_i32_16x16x32_i8 v[192:195], a[50:51], v[142:143], v[192:195]// 000000007320: D3D700C0 0F031D32
	buffer_load_dwordx4 a[176:179], v42, s[12:15], 0 offen     // 000000007328: E05C1000 8083B02A
	v_mfma_i32_16x16x32_i8 v[196:199], a[48:49], v[172:173], v[196:199]// 000000007330: D3D700C4 0F135930
	v_mfma_i32_16x16x32_i8 v[196:199], a[50:51], v[174:175], v[196:199]// 000000007338: D3D700C4 0F135D32
	v_mfma_i32_16x16x32_i8 v[200:203], a[52:53], v[140:141], v[200:203]// 000000007340: D3D700C8 0F231934
	v_mfma_i32_16x16x32_i8 v[200:203], a[54:55], v[142:143], v[200:203]// 000000007348: D3D700C8 0F231D36
	buffer_load_dwordx4 a[180:183], v43, s[12:15], 0 offen     // 000000007350: E05C1000 8083B42B
	v_mfma_i32_16x16x32_i8 v[204:207], a[52:53], v[172:173], v[204:207]// 000000007358: D3D700CC 0F335934
	v_mfma_i32_16x16x32_i8 v[204:207], a[54:55], v[174:175], v[204:207]// 000000007360: D3D700CC 0F335D36
	v_mfma_i32_16x16x32_i8 v[208:211], a[56:57], v[140:141], v[208:211]// 000000007368: D3D700D0 0F431938
	v_mfma_i32_16x16x32_i8 v[208:211], a[58:59], v[142:143], v[208:211]// 000000007370: D3D700D0 0F431D3A
	buffer_load_dwordx4 a[184:187], v44, s[12:15], 0 offen     // 000000007378: E05C1000 8083B82C
	v_mfma_i32_16x16x32_i8 v[212:215], a[56:57], v[172:173], v[212:215]// 000000007380: D3D700D4 0F535938
	v_mfma_i32_16x16x32_i8 v[212:215], a[58:59], v[174:175], v[212:215]// 000000007388: D3D700D4 0F535D3A
	v_mfma_i32_16x16x32_i8 v[216:219], a[60:61], v[140:141], v[216:219]// 000000007390: D3D700D8 0F63193C
	v_mfma_i32_16x16x32_i8 v[216:219], a[62:63], v[142:143], v[216:219]// 000000007398: D3D700D8 0F631D3E
	buffer_load_dwordx4 a[188:191], v45, s[12:15], 0 offen     // 0000000073A0: E05C1000 8083BC2D
	s_add_u32 s12, s78, s12                                    // 0000000073A8: 800C0C4E
	s_addc_u32 s13, 0, s13                                     // 0000000073AC: 820D0D80
	v_mfma_i32_16x16x32_i8 v[220:223], a[60:61], v[172:173], v[220:223]// 0000000073B0: D3D700DC 0F73593C
	v_mfma_i32_16x16x32_i8 v[220:223], a[62:63], v[174:175], v[220:223]// 0000000073B8: D3D700DC 0F735D3E
	s_waitcnt vmcnt(45)                                        // 0000000073C0: BF8C8F7D
	v_mfma_i32_16x16x32_i8 v[192:195], a[64:65], v[144:145], v[192:195]// 0000000073C4: D3D700C0 0F032140
	v_mfma_i32_16x16x32_i8 v[192:195], a[66:67], v[146:147], v[192:195]// 0000000073CC: D3D700C0 0F032542
	buffer_load_dwordx4 a[192:195], v42, s[12:15], 0 offen     // 0000000073D4: E05C1000 8083C02A
	v_mfma_i32_16x16x32_i8 v[196:199], a[64:65], v[176:177], v[196:199]// 0000000073DC: D3D700C4 0F136140
	v_mfma_i32_16x16x32_i8 v[196:199], a[66:67], v[178:179], v[196:199]// 0000000073E4: D3D700C4 0F136542
	v_mfma_i32_16x16x32_i8 v[200:203], a[68:69], v[144:145], v[200:203]// 0000000073EC: D3D700C8 0F232144
	v_mfma_i32_16x16x32_i8 v[200:203], a[70:71], v[146:147], v[200:203]// 0000000073F4: D3D700C8 0F232546
	buffer_load_dwordx4 a[196:199], v43, s[12:15], 0 offen     // 0000000073FC: E05C1000 8083C42B
	v_mfma_i32_16x16x32_i8 v[204:207], a[68:69], v[176:177], v[204:207]// 000000007404: D3D700CC 0F336144
	v_mfma_i32_16x16x32_i8 v[204:207], a[70:71], v[178:179], v[204:207]// 00000000740C: D3D700CC 0F336546
	v_mfma_i32_16x16x32_i8 v[208:211], a[72:73], v[144:145], v[208:211]// 000000007414: D3D700D0 0F432148
	v_mfma_i32_16x16x32_i8 v[208:211], a[74:75], v[146:147], v[208:211]// 00000000741C: D3D700D0 0F43254A
	buffer_load_dwordx4 a[200:203], v44, s[12:15], 0 offen     // 000000007424: E05C1000 8083C82C
	v_mfma_i32_16x16x32_i8 v[212:215], a[72:73], v[176:177], v[212:215]// 00000000742C: D3D700D4 0F536148
	v_mfma_i32_16x16x32_i8 v[212:215], a[74:75], v[178:179], v[212:215]// 000000007434: D3D700D4 0F53654A
	v_mfma_i32_16x16x32_i8 v[216:219], a[76:77], v[144:145], v[216:219]// 00000000743C: D3D700D8 0F63214C
	v_mfma_i32_16x16x32_i8 v[216:219], a[78:79], v[146:147], v[216:219]// 000000007444: D3D700D8 0F63254E
	buffer_load_dwordx4 a[204:207], v45, s[12:15], 0 offen     // 00000000744C: E05C1000 8083CC2D
	s_add_u32 s12, s78, s12                                    // 000000007454: 800C0C4E
	s_addc_u32 s13, 0, s13                                     // 000000007458: 820D0D80
	v_mfma_i32_16x16x32_i8 v[220:223], a[76:77], v[176:177], v[220:223]// 00000000745C: D3D700DC 0F73614C
	v_mfma_i32_16x16x32_i8 v[220:223], a[78:79], v[178:179], v[220:223]// 000000007464: D3D700DC 0F73654E
	s_waitcnt vmcnt(45)                                        // 00000000746C: BF8C8F7D
	v_mfma_i32_16x16x32_i8 v[192:195], a[80:81], v[148:149], v[192:195]// 000000007470: D3D700C0 0F032950
	v_mfma_i32_16x16x32_i8 v[192:195], a[82:83], v[150:151], v[192:195]// 000000007478: D3D700C0 0F032D52
	buffer_load_dwordx4 a[208:211], v42, s[12:15], 0 offen     // 000000007480: E05C1000 8083D02A
	v_mfma_i32_16x16x32_i8 v[196:199], a[80:81], v[180:181], v[196:199]// 000000007488: D3D700C4 0F136950
	v_mfma_i32_16x16x32_i8 v[196:199], a[82:83], v[182:183], v[196:199]// 000000007490: D3D700C4 0F136D52
	v_mfma_i32_16x16x32_i8 v[200:203], a[84:85], v[148:149], v[200:203]// 000000007498: D3D700C8 0F232954
	v_mfma_i32_16x16x32_i8 v[200:203], a[86:87], v[150:151], v[200:203]// 0000000074A0: D3D700C8 0F232D56
	buffer_load_dwordx4 a[212:215], v43, s[12:15], 0 offen     // 0000000074A8: E05C1000 8083D42B
	v_mfma_i32_16x16x32_i8 v[204:207], a[84:85], v[180:181], v[204:207]// 0000000074B0: D3D700CC 0F336954
	v_mfma_i32_16x16x32_i8 v[204:207], a[86:87], v[182:183], v[204:207]// 0000000074B8: D3D700CC 0F336D56
	v_mfma_i32_16x16x32_i8 v[208:211], a[88:89], v[148:149], v[208:211]// 0000000074C0: D3D700D0 0F432958
	v_mfma_i32_16x16x32_i8 v[208:211], a[90:91], v[150:151], v[208:211]// 0000000074C8: D3D700D0 0F432D5A
	buffer_load_dwordx4 a[216:219], v44, s[12:15], 0 offen     // 0000000074D0: E05C1000 8083D82C
	v_mfma_i32_16x16x32_i8 v[212:215], a[88:89], v[180:181], v[212:215]// 0000000074D8: D3D700D4 0F536958
	v_mfma_i32_16x16x32_i8 v[212:215], a[90:91], v[182:183], v[212:215]// 0000000074E0: D3D700D4 0F536D5A
	v_mfma_i32_16x16x32_i8 v[216:219], a[92:93], v[148:149], v[216:219]// 0000000074E8: D3D700D8 0F63295C
	v_mfma_i32_16x16x32_i8 v[216:219], a[94:95], v[150:151], v[216:219]// 0000000074F0: D3D700D8 0F632D5E
	buffer_load_dwordx4 a[220:223], v45, s[12:15], 0 offen     // 0000000074F8: E05C1000 8083DC2D
	s_add_u32 s12, s78, s12                                    // 000000007500: 800C0C4E
	s_addc_u32 s13, 0, s13                                     // 000000007504: 820D0D80
	v_mfma_i32_16x16x32_i8 v[220:223], a[92:93], v[180:181], v[220:223]// 000000007508: D3D700DC 0F73695C
	v_mfma_i32_16x16x32_i8 v[220:223], a[94:95], v[182:183], v[220:223]// 000000007510: D3D700DC 0F736D5E
	s_waitcnt vmcnt(45)                                        // 000000007518: BF8C8F7D
	v_mfma_i32_16x16x32_i8 v[192:195], a[96:97], v[152:153], v[192:195]// 00000000751C: D3D700C0 0F033160
	v_mfma_i32_16x16x32_i8 v[192:195], a[98:99], v[154:155], v[192:195]// 000000007524: D3D700C0 0F033562
	buffer_load_dwordx4 a[224:227], v42, s[12:15], 0 offen     // 00000000752C: E05C1000 8083E02A
	v_mfma_i32_16x16x32_i8 v[196:199], a[96:97], v[184:185], v[196:199]// 000000007534: D3D700C4 0F137160
	v_mfma_i32_16x16x32_i8 v[196:199], a[98:99], v[186:187], v[196:199]// 00000000753C: D3D700C4 0F137562
	v_mfma_i32_16x16x32_i8 v[200:203], a[100:101], v[152:153], v[200:203]// 000000007544: D3D700C8 0F233164
	v_mfma_i32_16x16x32_i8 v[200:203], a[102:103], v[154:155], v[200:203]// 00000000754C: D3D700C8 0F233566
	buffer_load_dwordx4 a[228:231], v43, s[12:15], 0 offen     // 000000007554: E05C1000 8083E42B
	v_mfma_i32_16x16x32_i8 v[204:207], a[100:101], v[184:185], v[204:207]// 00000000755C: D3D700CC 0F337164
	v_mfma_i32_16x16x32_i8 v[204:207], a[102:103], v[186:187], v[204:207]// 000000007564: D3D700CC 0F337566
	v_mfma_i32_16x16x32_i8 v[208:211], a[104:105], v[152:153], v[208:211]// 00000000756C: D3D700D0 0F433168
	v_mfma_i32_16x16x32_i8 v[208:211], a[106:107], v[154:155], v[208:211]// 000000007574: D3D700D0 0F43356A
	buffer_load_dwordx4 a[232:235], v44, s[12:15], 0 offen     // 00000000757C: E05C1000 8083E82C
	v_mfma_i32_16x16x32_i8 v[212:215], a[104:105], v[184:185], v[212:215]// 000000007584: D3D700D4 0F537168
	v_mfma_i32_16x16x32_i8 v[212:215], a[106:107], v[186:187], v[212:215]// 00000000758C: D3D700D4 0F53756A
	v_mfma_i32_16x16x32_i8 v[216:219], a[108:109], v[152:153], v[216:219]// 000000007594: D3D700D8 0F63316C
	v_mfma_i32_16x16x32_i8 v[216:219], a[110:111], v[154:155], v[216:219]// 00000000759C: D3D700D8 0F63356E
	buffer_load_dwordx4 a[236:239], v45, s[12:15], 0 offen     // 0000000075A4: E05C1000 8083EC2D
	s_add_u32 s12, s78, s12                                    // 0000000075AC: 800C0C4E
	s_addc_u32 s13, 0, s13                                     // 0000000075B0: 820D0D80
	v_mfma_i32_16x16x32_i8 v[220:223], a[108:109], v[184:185], v[220:223]// 0000000075B4: D3D700DC 0F73716C
	v_mfma_i32_16x16x32_i8 v[220:223], a[110:111], v[186:187], v[220:223]// 0000000075BC: D3D700DC 0F73756E
	s_waitcnt vmcnt(44)                                        // 0000000075C4: BF8C8F7C
	v_mfma_i32_16x16x32_i8 v[192:195], a[112:113], v[156:157], v[192:195]// 0000000075C8: D3D700C0 0F033970
	v_mfma_i32_16x16x32_i8 v[192:195], a[114:115], v[158:159], v[192:195]// 0000000075D0: D3D700C0 0F033D72
	buffer_load_dwordx4 a[240:243], v42, s[12:15], 0 offen     // 0000000075D8: E05C1000 8083F02A
	v_mfma_i32_16x16x32_i8 v[196:199], a[112:113], v[188:189], v[196:199]// 0000000075E0: D3D700C4 0F137970
	v_mfma_i32_16x16x32_i8 v[196:199], a[114:115], v[190:191], v[196:199]// 0000000075E8: D3D700C4 0F137D72
	buffer_load_dword v13, v5, s[16:19], 0 offen               // 0000000075F0: E0501000 80040D05
	v_mfma_i32_16x16x32_i8 v[200:203], a[116:117], v[156:157], v[200:203]// 0000000075F8: D3D700C8 0F233974
	v_mfma_i32_16x16x32_i8 v[200:203], a[118:119], v[158:159], v[200:203]// 000000007600: D3D700C8 0F233D76
	buffer_load_dwordx4 a[244:247], v43, s[12:15], 0 offen     // 000000007608: E05C1000 8083F42B
	v_mfma_i32_16x16x32_i8 v[204:207], a[116:117], v[188:189], v[204:207]// 000000007610: D3D700CC 0F337974
	v_mfma_i32_16x16x32_i8 v[204:207], a[118:119], v[190:191], v[204:207]// 000000007618: D3D700CC 0F337D76
	v_mfma_i32_16x16x32_i8 v[208:211], a[120:121], v[156:157], v[208:211]// 000000007620: D3D700D0 0F433978
	v_mfma_i32_16x16x32_i8 v[208:211], a[122:123], v[158:159], v[208:211]// 000000007628: D3D700D0 0F433D7A
	buffer_load_dwordx4 a[248:251], v44, s[12:15], 0 offen     // 000000007630: E05C1000 8083F82C
	v_mfma_i32_16x16x32_i8 v[212:215], a[120:121], v[188:189], v[212:215]// 000000007638: D3D700D4 0F537978
	v_mfma_i32_16x16x32_i8 v[212:215], a[122:123], v[190:191], v[212:215]// 000000007640: D3D700D4 0F537D7A
	v_mfma_i32_16x16x32_i8 v[216:219], a[124:125], v[156:157], v[216:219]// 000000007648: D3D700D8 0F63397C
	v_mfma_i32_16x16x32_i8 v[216:219], a[126:127], v[158:159], v[216:219]// 000000007650: D3D700D8 0F633D7E
	buffer_load_dwordx4 a[252:255], v45, s[12:15], 0 offen     // 000000007658: E05C1000 8083FC2D
	v_mfma_i32_16x16x32_i8 v[220:223], a[124:125], v[188:189], v[220:223]// 000000007660: D3D700DC 0F73797C
	v_mfma_i32_16x16x32_i8 v[220:223], a[126:127], v[190:191], v[220:223]// 000000007668: D3D700DC 0F737D7E
	s_add_u32 s60, 0x200, s80                                  // 000000007670: 803C50FF 00000200
	s_cmp_lt_u32 s60, s81                                      // 000000007678: BF0A513C
	s_cselect_b32 s56, s56, 0                                  // 00000000767C: 85388038
	s_cselect_b32 s78, s78, 0                                  // 000000007680: 854E804E
	s_cselect_b32 s79, s79, 0                                  // 000000007684: 854F804F
	s_add_u32 s12, s56, s12                                    // 000000007688: 800C0C38
	s_addc_u32 s13, 0, s13                                     // 00000000768C: 820D0D80
	s_add_u32 s16, s79, s16                                    // 000000007690: 8010104F
	s_addc_u32 s17, 0, s17                                     // 000000007694: 82111180
	v_cvt_f32_i32_e32 v192, v192                               // 000000007698: 7F800BC0
	v_cvt_f32_i32_e32 v193, v193                               // 00000000769C: 7F820BC1
	v_cvt_f32_i32_e32 v194, v194                               // 0000000076A0: 7F840BC2
	v_cvt_f32_i32_e32 v195, v195                               // 0000000076A4: 7F860BC3
	v_mul_f32_e32 v192, v24, v192                              // 0000000076A8: 0B818118
	v_mul_f32_e32 v193, v24, v193                              // 0000000076AC: 0B838318
	v_mul_f32_e32 v194, v24, v194                              // 0000000076B0: 0B858518
	v_mul_f32_e32 v195, v24, v195                              // 0000000076B4: 0B878718
	v_mul_f32_dpp v192, v12, v192 row_newbcast:0 row_mask:0xf bank_mask:0xf// 0000000076B8: 0B8180FA FF01500C
	v_mul_f32_dpp v193, v12, v193 row_newbcast:1 row_mask:0xf bank_mask:0xf// 0000000076C0: 0B8382FA FF01510C
	v_mul_f32_dpp v194, v12, v194 row_newbcast:2 row_mask:0xf bank_mask:0xf// 0000000076C8: 0B8584FA FF01520C
	v_mul_f32_dpp v195, v12, v195 row_newbcast:3 row_mask:0xf bank_mask:0xf// 0000000076D0: 0B8786FA FF01530C
	v_mul_f32_e32 v192, v20, v192                              // 0000000076D8: 0B818114
	v_mul_f32_e32 v193, v20, v193                              // 0000000076DC: 0B838314
	v_mul_f32_e32 v194, v20, v194                              // 0000000076E0: 0B858514
	v_mul_f32_e32 v195, v20, v195                              // 0000000076E4: 0B878714
	v_cvt_f32_i32_e32 v196, v196                               // 0000000076E8: 7F880BC4
	v_cvt_f32_i32_e32 v197, v197                               // 0000000076EC: 7F8A0BC5
	v_cvt_f32_i32_e32 v198, v198                               // 0000000076F0: 7F8C0BC6
	v_cvt_f32_i32_e32 v199, v199                               // 0000000076F4: 7F8E0BC7
	v_mul_f32_e32 v196, v25, v196                              // 0000000076F8: 0B898919
	v_mul_f32_e32 v197, v25, v197                              // 0000000076FC: 0B8B8B19
	v_mul_f32_e32 v198, v25, v198                              // 000000007700: 0B8D8D19
	v_mul_f32_e32 v199, v25, v199                              // 000000007704: 0B8F8F19
	v_mul_f32_dpp v196, v12, v196 row_newbcast:0 row_mask:0xf bank_mask:0xf// 000000007708: 0B8988FA FF01500C
	v_mul_f32_dpp v197, v12, v197 row_newbcast:1 row_mask:0xf bank_mask:0xf// 000000007710: 0B8B8AFA FF01510C
	v_mul_f32_dpp v198, v12, v198 row_newbcast:2 row_mask:0xf bank_mask:0xf// 000000007718: 0B8D8CFA FF01520C
	v_mul_f32_dpp v199, v12, v199 row_newbcast:3 row_mask:0xf bank_mask:0xf// 000000007720: 0B8F8EFA FF01530C
	v_mul_f32_e32 v196, v21, v196                              // 000000007728: 0B898915
	v_mul_f32_e32 v197, v21, v197                              // 00000000772C: 0B8B8B15
	v_mul_f32_e32 v198, v21, v198                              // 000000007730: 0B8D8D15
	v_mul_f32_e32 v199, v21, v199                              // 000000007734: 0B8F8F15
	v_cvt_f32_i32_e32 v200, v200                               // 000000007738: 7F900BC8
	v_cvt_f32_i32_e32 v201, v201                               // 00000000773C: 7F920BC9
	v_cvt_f32_i32_e32 v202, v202                               // 000000007740: 7F940BCA
	v_cvt_f32_i32_e32 v203, v203                               // 000000007744: 7F960BCB
	v_mul_f32_e32 v200, v24, v200                              // 000000007748: 0B919118
	v_mul_f32_e32 v201, v24, v201                              // 00000000774C: 0B939318
	v_mul_f32_e32 v202, v24, v202                              // 000000007750: 0B959518
	v_mul_f32_e32 v203, v24, v203                              // 000000007754: 0B979718
	v_mul_f32_dpp v200, v12, v200 row_newbcast:4 row_mask:0xf bank_mask:0xf// 000000007758: 0B9190FA FF01540C
	v_mul_f32_dpp v201, v12, v201 row_newbcast:5 row_mask:0xf bank_mask:0xf// 000000007760: 0B9392FA FF01550C
	v_mul_f32_dpp v202, v12, v202 row_newbcast:6 row_mask:0xf bank_mask:0xf// 000000007768: 0B9594FA FF01560C
	v_mul_f32_dpp v203, v12, v203 row_newbcast:7 row_mask:0xf bank_mask:0xf// 000000007770: 0B9796FA FF01570C
	v_mul_f32_e32 v200, v20, v200                              // 000000007778: 0B919114
	v_mul_f32_e32 v201, v20, v201                              // 00000000777C: 0B939314
	v_mul_f32_e32 v202, v20, v202                              // 000000007780: 0B959514
	v_mul_f32_e32 v203, v20, v203                              // 000000007784: 0B979714
	v_cvt_f32_i32_e32 v204, v204                               // 000000007788: 7F980BCC
	v_cvt_f32_i32_e32 v205, v205                               // 00000000778C: 7F9A0BCD
	v_cvt_f32_i32_e32 v206, v206                               // 000000007790: 7F9C0BCE
	v_cvt_f32_i32_e32 v207, v207                               // 000000007794: 7F9E0BCF
	v_mul_f32_e32 v204, v25, v204                              // 000000007798: 0B999919
	v_mul_f32_e32 v205, v25, v205                              // 00000000779C: 0B9B9B19
	v_mul_f32_e32 v206, v25, v206                              // 0000000077A0: 0B9D9D19
	v_mul_f32_e32 v207, v25, v207                              // 0000000077A4: 0B9F9F19
	v_mul_f32_dpp v204, v12, v204 row_newbcast:4 row_mask:0xf bank_mask:0xf// 0000000077A8: 0B9998FA FF01540C
	v_mul_f32_dpp v205, v12, v205 row_newbcast:5 row_mask:0xf bank_mask:0xf// 0000000077B0: 0B9B9AFA FF01550C
	v_mul_f32_dpp v206, v12, v206 row_newbcast:6 row_mask:0xf bank_mask:0xf// 0000000077B8: 0B9D9CFA FF01560C
	v_mul_f32_dpp v207, v12, v207 row_newbcast:7 row_mask:0xf bank_mask:0xf// 0000000077C0: 0B9F9EFA FF01570C
	v_mul_f32_e32 v204, v21, v204                              // 0000000077C8: 0B999915
	v_mul_f32_e32 v205, v21, v205                              // 0000000077CC: 0B9B9B15
	v_mul_f32_e32 v206, v21, v206                              // 0000000077D0: 0B9D9D15
	v_mul_f32_e32 v207, v21, v207                              // 0000000077D4: 0B9F9F15
	v_cvt_f32_i32_e32 v208, v208                               // 0000000077D8: 7FA00BD0
	v_cvt_f32_i32_e32 v209, v209                               // 0000000077DC: 7FA20BD1
	v_cvt_f32_i32_e32 v210, v210                               // 0000000077E0: 7FA40BD2
	v_cvt_f32_i32_e32 v211, v211                               // 0000000077E4: 7FA60BD3
	v_mul_f32_e32 v208, v24, v208                              // 0000000077E8: 0BA1A118
	v_mul_f32_e32 v209, v24, v209                              // 0000000077EC: 0BA3A318
	v_mul_f32_e32 v210, v24, v210                              // 0000000077F0: 0BA5A518
	v_mul_f32_e32 v211, v24, v211                              // 0000000077F4: 0BA7A718
	v_mul_f32_dpp v208, v12, v208 row_newbcast:8 row_mask:0xf bank_mask:0xf// 0000000077F8: 0BA1A0FA FF01580C
	v_mul_f32_dpp v209, v12, v209 row_newbcast:9 row_mask:0xf bank_mask:0xf// 000000007800: 0BA3A2FA FF01590C
	v_mul_f32_dpp v210, v12, v210 row_newbcast:10 row_mask:0xf bank_mask:0xf// 000000007808: 0BA5A4FA FF015A0C
	v_mul_f32_dpp v211, v12, v211 row_newbcast:11 row_mask:0xf bank_mask:0xf// 000000007810: 0BA7A6FA FF015B0C
	v_mul_f32_e32 v208, v20, v208                              // 000000007818: 0BA1A114
	v_mul_f32_e32 v209, v20, v209                              // 00000000781C: 0BA3A314
	v_mul_f32_e32 v210, v20, v210                              // 000000007820: 0BA5A514
	v_mul_f32_e32 v211, v20, v211                              // 000000007824: 0BA7A714
	v_cvt_f32_i32_e32 v212, v212                               // 000000007828: 7FA80BD4
	v_cvt_f32_i32_e32 v213, v213                               // 00000000782C: 7FAA0BD5
	v_cvt_f32_i32_e32 v214, v214                               // 000000007830: 7FAC0BD6
	v_cvt_f32_i32_e32 v215, v215                               // 000000007834: 7FAE0BD7
	v_mul_f32_e32 v212, v25, v212                              // 000000007838: 0BA9A919
	v_mul_f32_e32 v213, v25, v213                              // 00000000783C: 0BABAB19
	v_mul_f32_e32 v214, v25, v214                              // 000000007840: 0BADAD19
	v_mul_f32_e32 v215, v25, v215                              // 000000007844: 0BAFAF19
	v_mul_f32_dpp v212, v12, v212 row_newbcast:8 row_mask:0xf bank_mask:0xf// 000000007848: 0BA9A8FA FF01580C
	v_mul_f32_dpp v213, v12, v213 row_newbcast:9 row_mask:0xf bank_mask:0xf// 000000007850: 0BABAAFA FF01590C
	v_mul_f32_dpp v214, v12, v214 row_newbcast:10 row_mask:0xf bank_mask:0xf// 000000007858: 0BADACFA FF015A0C
	v_mul_f32_dpp v215, v12, v215 row_newbcast:11 row_mask:0xf bank_mask:0xf// 000000007860: 0BAFAEFA FF015B0C
	v_mul_f32_e32 v212, v21, v212                              // 000000007868: 0BA9A915
	v_mul_f32_e32 v213, v21, v213                              // 00000000786C: 0BABAB15
	v_mul_f32_e32 v214, v21, v214                              // 000000007870: 0BADAD15
	v_mul_f32_e32 v215, v21, v215                              // 000000007874: 0BAFAF15
	v_cvt_f32_i32_e32 v216, v216                               // 000000007878: 7FB00BD8
	v_cvt_f32_i32_e32 v217, v217                               // 00000000787C: 7FB20BD9
	v_cvt_f32_i32_e32 v218, v218                               // 000000007880: 7FB40BDA
	v_cvt_f32_i32_e32 v219, v219                               // 000000007884: 7FB60BDB
	v_mul_f32_e32 v216, v24, v216                              // 000000007888: 0BB1B118
	v_mul_f32_e32 v217, v24, v217                              // 00000000788C: 0BB3B318
	v_mul_f32_e32 v218, v24, v218                              // 000000007890: 0BB5B518
	v_mul_f32_e32 v219, v24, v219                              // 000000007894: 0BB7B718
	v_mul_f32_dpp v216, v12, v216 row_newbcast:12 row_mask:0xf bank_mask:0xf// 000000007898: 0BB1B0FA FF015C0C
	v_mul_f32_dpp v217, v12, v217 row_newbcast:13 row_mask:0xf bank_mask:0xf// 0000000078A0: 0BB3B2FA FF015D0C
	v_mul_f32_dpp v218, v12, v218 row_newbcast:14 row_mask:0xf bank_mask:0xf// 0000000078A8: 0BB5B4FA FF015E0C
	v_mul_f32_dpp v219, v12, v219 row_newbcast:15 row_mask:0xf bank_mask:0xf// 0000000078B0: 0BB7B6FA FF015F0C
	v_mul_f32_e32 v216, v20, v216                              // 0000000078B8: 0BB1B114
	v_mul_f32_e32 v217, v20, v217                              // 0000000078BC: 0BB3B314
	v_mul_f32_e32 v218, v20, v218                              // 0000000078C0: 0BB5B514
	v_mul_f32_e32 v219, v20, v219                              // 0000000078C4: 0BB7B714
	v_cvt_f32_i32_e32 v220, v220                               // 0000000078C8: 7FB80BDC
	v_cvt_f32_i32_e32 v221, v221                               // 0000000078CC: 7FBA0BDD
	v_cvt_f32_i32_e32 v222, v222                               // 0000000078D0: 7FBC0BDE
	v_cvt_f32_i32_e32 v223, v223                               // 0000000078D4: 7FBE0BDF
	v_mul_f32_e32 v220, v25, v220                              // 0000000078D8: 0BB9B919
	v_mul_f32_e32 v221, v25, v221                              // 0000000078DC: 0BBBBB19
	v_mul_f32_e32 v222, v25, v222                              // 0000000078E0: 0BBDBD19
	v_mul_f32_e32 v223, v25, v223                              // 0000000078E4: 0BBFBF19
	v_mul_f32_dpp v220, v12, v220 row_newbcast:12 row_mask:0xf bank_mask:0xf// 0000000078E8: 0BB9B8FA FF015C0C
	v_mul_f32_dpp v221, v12, v221 row_newbcast:13 row_mask:0xf bank_mask:0xf// 0000000078F0: 0BBBBAFA FF015D0C
	v_mul_f32_dpp v222, v12, v222 row_newbcast:14 row_mask:0xf bank_mask:0xf// 0000000078F8: 0BBDBCFA FF015E0C
	v_mul_f32_dpp v223, v12, v223 row_newbcast:15 row_mask:0xf bank_mask:0xf// 000000007900: 0BBFBEFA FF015F0C
	v_mul_f32_e32 v220, v21, v220                              // 000000007908: 0BB9B915
	v_mul_f32_e32 v221, v21, v221                              // 00000000790C: 0BBBBB15
	v_mul_f32_e32 v222, v21, v222                              // 000000007910: 0BBDBD15
	v_mul_f32_e32 v223, v21, v223                              // 000000007914: 0BBFBF15
	v_cmp_u_f32_e64 s[48:49], v192, v192                       // 000000007918: D0480030 000381C0
	v_add3_u32 v46, v192, v49, 1                               // 000000007920: D1FF002E 020663C0
	v_cndmask_b32_e64 v52, v46, v48, s[48:49]                  // 000000007928: D1000034 00C2612E
	v_cmp_u_f32_e64 s[48:49], v193, v193                       // 000000007930: D0480030 000383C1
	v_add3_u32 v46, v193, v49, 1                               // 000000007938: D1FF002E 020663C1
	v_cndmask_b32_e64 v53, v46, v48, s[48:49]                  // 000000007940: D1000035 00C2612E
	v_perm_b32 v192, v53, v52, s52                             // 000000007948: D1ED00C0 00D26935
	v_cmp_u_f32_e64 s[48:49], v194, v194                       // 000000007950: D0480030 000385C2
	v_add3_u32 v46, v194, v49, 1                               // 000000007958: D1FF002E 020663C2
	v_cndmask_b32_e64 v52, v46, v48, s[48:49]                  // 000000007960: D1000034 00C2612E
	v_cmp_u_f32_e64 s[48:49], v195, v195                       // 000000007968: D0480030 000387C3
	v_add3_u32 v46, v195, v49, 1                               // 000000007970: D1FF002E 020663C3
	v_cndmask_b32_e64 v53, v46, v48, s[48:49]                  // 000000007978: D1000035 00C2612E
	v_perm_b32 v193, v53, v52, s52                             // 000000007980: D1ED00C1 00D26935
	v_cmp_u_f32_e64 s[48:49], v196, v196                       // 000000007988: D0480030 000389C4
	v_add3_u32 v46, v196, v49, 1                               // 000000007990: D1FF002E 020663C4
	v_cndmask_b32_e64 v52, v46, v48, s[48:49]                  // 000000007998: D1000034 00C2612E
	v_cmp_u_f32_e64 s[48:49], v197, v197                       // 0000000079A0: D0480030 00038BC5
	v_add3_u32 v46, v197, v49, 1                               // 0000000079A8: D1FF002E 020663C5
	v_cndmask_b32_e64 v53, v46, v48, s[48:49]                  // 0000000079B0: D1000035 00C2612E
	v_perm_b32 v194, v53, v52, s52                             // 0000000079B8: D1ED00C2 00D26935
	v_cmp_u_f32_e64 s[48:49], v198, v198                       // 0000000079C0: D0480030 00038DC6
	v_add3_u32 v46, v198, v49, 1                               // 0000000079C8: D1FF002E 020663C6
	v_cndmask_b32_e64 v52, v46, v48, s[48:49]                  // 0000000079D0: D1000034 00C2612E
	v_cmp_u_f32_e64 s[48:49], v199, v199                       // 0000000079D8: D0480030 00038FC7
	v_add3_u32 v46, v199, v49, 1                               // 0000000079E0: D1FF002E 020663C7
	v_cndmask_b32_e64 v53, v46, v48, s[48:49]                  // 0000000079E8: D1000035 00C2612E
	v_perm_b32 v195, v53, v52, s52                             // 0000000079F0: D1ED00C3 00D26935
	v_cmp_u_f32_e64 s[48:49], v200, v200                       // 0000000079F8: D0480030 000391C8
	v_add3_u32 v46, v200, v49, 1                               // 000000007A00: D1FF002E 020663C8
	v_cndmask_b32_e64 v52, v46, v48, s[48:49]                  // 000000007A08: D1000034 00C2612E
	v_cmp_u_f32_e64 s[48:49], v201, v201                       // 000000007A10: D0480030 000393C9
	v_add3_u32 v46, v201, v49, 1                               // 000000007A18: D1FF002E 020663C9
	v_cndmask_b32_e64 v53, v46, v48, s[48:49]                  // 000000007A20: D1000035 00C2612E
	v_perm_b32 v196, v53, v52, s52                             // 000000007A28: D1ED00C4 00D26935
	v_cmp_u_f32_e64 s[48:49], v202, v202                       // 000000007A30: D0480030 000395CA
	v_add3_u32 v46, v202, v49, 1                               // 000000007A38: D1FF002E 020663CA
	v_cndmask_b32_e64 v52, v46, v48, s[48:49]                  // 000000007A40: D1000034 00C2612E
	v_cmp_u_f32_e64 s[48:49], v203, v203                       // 000000007A48: D0480030 000397CB
	v_add3_u32 v46, v203, v49, 1                               // 000000007A50: D1FF002E 020663CB
	v_cndmask_b32_e64 v53, v46, v48, s[48:49]                  // 000000007A58: D1000035 00C2612E
	v_perm_b32 v197, v53, v52, s52                             // 000000007A60: D1ED00C5 00D26935
	v_cmp_u_f32_e64 s[48:49], v204, v204                       // 000000007A68: D0480030 000399CC
	v_add3_u32 v46, v204, v49, 1                               // 000000007A70: D1FF002E 020663CC
	v_cndmask_b32_e64 v52, v46, v48, s[48:49]                  // 000000007A78: D1000034 00C2612E
	v_cmp_u_f32_e64 s[48:49], v205, v205                       // 000000007A80: D0480030 00039BCD
	v_add3_u32 v46, v205, v49, 1                               // 000000007A88: D1FF002E 020663CD
	v_cndmask_b32_e64 v53, v46, v48, s[48:49]                  // 000000007A90: D1000035 00C2612E
	v_perm_b32 v198, v53, v52, s52                             // 000000007A98: D1ED00C6 00D26935
	v_cmp_u_f32_e64 s[48:49], v206, v206                       // 000000007AA0: D0480030 00039DCE
	v_add3_u32 v46, v206, v49, 1                               // 000000007AA8: D1FF002E 020663CE
	v_cndmask_b32_e64 v52, v46, v48, s[48:49]                  // 000000007AB0: D1000034 00C2612E
	v_cmp_u_f32_e64 s[48:49], v207, v207                       // 000000007AB8: D0480030 00039FCF
	v_add3_u32 v46, v207, v49, 1                               // 000000007AC0: D1FF002E 020663CF
	v_cndmask_b32_e64 v53, v46, v48, s[48:49]                  // 000000007AC8: D1000035 00C2612E
	v_perm_b32 v199, v53, v52, s52                             // 000000007AD0: D1ED00C7 00D26935
	v_cmp_u_f32_e64 s[48:49], v208, v208                       // 000000007AD8: D0480030 0003A1D0
	v_add3_u32 v46, v208, v49, 1                               // 000000007AE0: D1FF002E 020663D0
	v_cndmask_b32_e64 v52, v46, v48, s[48:49]                  // 000000007AE8: D1000034 00C2612E
	v_cmp_u_f32_e64 s[48:49], v209, v209                       // 000000007AF0: D0480030 0003A3D1
	v_add3_u32 v46, v209, v49, 1                               // 000000007AF8: D1FF002E 020663D1
	v_cndmask_b32_e64 v53, v46, v48, s[48:49]                  // 000000007B00: D1000035 00C2612E
	v_perm_b32 v200, v53, v52, s52                             // 000000007B08: D1ED00C8 00D26935
	v_cmp_u_f32_e64 s[48:49], v210, v210                       // 000000007B10: D0480030 0003A5D2
	v_add3_u32 v46, v210, v49, 1                               // 000000007B18: D1FF002E 020663D2
	v_cndmask_b32_e64 v52, v46, v48, s[48:49]                  // 000000007B20: D1000034 00C2612E
	v_cmp_u_f32_e64 s[48:49], v211, v211                       // 000000007B28: D0480030 0003A7D3
	v_add3_u32 v46, v211, v49, 1                               // 000000007B30: D1FF002E 020663D3
	v_cndmask_b32_e64 v53, v46, v48, s[48:49]                  // 000000007B38: D1000035 00C2612E
	v_perm_b32 v201, v53, v52, s52                             // 000000007B40: D1ED00C9 00D26935
	v_cmp_u_f32_e64 s[48:49], v212, v212                       // 000000007B48: D0480030 0003A9D4
	v_add3_u32 v46, v212, v49, 1                               // 000000007B50: D1FF002E 020663D4
	v_cndmask_b32_e64 v52, v46, v48, s[48:49]                  // 000000007B58: D1000034 00C2612E
	v_cmp_u_f32_e64 s[48:49], v213, v213                       // 000000007B60: D0480030 0003ABD5
	v_add3_u32 v46, v213, v49, 1                               // 000000007B68: D1FF002E 020663D5
	v_cndmask_b32_e64 v53, v46, v48, s[48:49]                  // 000000007B70: D1000035 00C2612E
	v_perm_b32 v202, v53, v52, s52                             // 000000007B78: D1ED00CA 00D26935
	v_cmp_u_f32_e64 s[48:49], v214, v214                       // 000000007B80: D0480030 0003ADD6
	v_add3_u32 v46, v214, v49, 1                               // 000000007B88: D1FF002E 020663D6
	v_cndmask_b32_e64 v52, v46, v48, s[48:49]                  // 000000007B90: D1000034 00C2612E
	v_cmp_u_f32_e64 s[48:49], v215, v215                       // 000000007B98: D0480030 0003AFD7
	v_add3_u32 v46, v215, v49, 1                               // 000000007BA0: D1FF002E 020663D7
	v_cndmask_b32_e64 v53, v46, v48, s[48:49]                  // 000000007BA8: D1000035 00C2612E
	v_perm_b32 v203, v53, v52, s52                             // 000000007BB0: D1ED00CB 00D26935
	v_cmp_u_f32_e64 s[48:49], v216, v216                       // 000000007BB8: D0480030 0003B1D8
	v_add3_u32 v46, v216, v49, 1                               // 000000007BC0: D1FF002E 020663D8
	v_cndmask_b32_e64 v52, v46, v48, s[48:49]                  // 000000007BC8: D1000034 00C2612E
	v_cmp_u_f32_e64 s[48:49], v217, v217                       // 000000007BD0: D0480030 0003B3D9
	v_add3_u32 v46, v217, v49, 1                               // 000000007BD8: D1FF002E 020663D9
	v_cndmask_b32_e64 v53, v46, v48, s[48:49]                  // 000000007BE0: D1000035 00C2612E
	v_perm_b32 v204, v53, v52, s52                             // 000000007BE8: D1ED00CC 00D26935
	v_cmp_u_f32_e64 s[48:49], v218, v218                       // 000000007BF0: D0480030 0003B5DA
	v_add3_u32 v46, v218, v49, 1                               // 000000007BF8: D1FF002E 020663DA
	v_cndmask_b32_e64 v52, v46, v48, s[48:49]                  // 000000007C00: D1000034 00C2612E
	v_cmp_u_f32_e64 s[48:49], v219, v219                       // 000000007C08: D0480030 0003B7DB
	v_add3_u32 v46, v219, v49, 1                               // 000000007C10: D1FF002E 020663DB
	v_cndmask_b32_e64 v53, v46, v48, s[48:49]                  // 000000007C18: D1000035 00C2612E
	v_perm_b32 v205, v53, v52, s52                             // 000000007C20: D1ED00CD 00D26935
	v_cmp_u_f32_e64 s[48:49], v220, v220                       // 000000007C28: D0480030 0003B9DC
	v_add3_u32 v46, v220, v49, 1                               // 000000007C30: D1FF002E 020663DC
	v_cndmask_b32_e64 v52, v46, v48, s[48:49]                  // 000000007C38: D1000034 00C2612E
	v_cmp_u_f32_e64 s[48:49], v221, v221                       // 000000007C40: D0480030 0003BBDD
	v_add3_u32 v46, v221, v49, 1                               // 000000007C48: D1FF002E 020663DD
	v_cndmask_b32_e64 v53, v46, v48, s[48:49]                  // 000000007C50: D1000035 00C2612E
	v_perm_b32 v206, v53, v52, s52                             // 000000007C58: D1ED00CE 00D26935
	v_cmp_u_f32_e64 s[48:49], v222, v222                       // 000000007C60: D0480030 0003BDDE
	v_add3_u32 v46, v222, v49, 1                               // 000000007C68: D1FF002E 020663DE
	v_cndmask_b32_e64 v52, v46, v48, s[48:49]                  // 000000007C70: D1000034 00C2612E
	v_cmp_u_f32_e64 s[48:49], v223, v223                       // 000000007C78: D0480030 0003BFDF
	v_add3_u32 v46, v223, v49, 1                               // 000000007C80: D1FF002E 020663DF
	v_cndmask_b32_e64 v53, v46, v48, s[48:49]                  // 000000007C88: D1000035 00C2612E
	v_perm_b32 v207, v53, v52, s52                             // 000000007C90: D1ED00CF 00D26935
	ds_write_b64 v3, v[192:193] offset:35072                   // 000000007C98: D89A8900 0000C003
	ds_write_b64 v3, v[194:195] offset:43776                   // 000000007CA0: D89AAB00 0000C203
	ds_write_b64 v3, v[196:197] offset:37248                   // 000000007CA8: D89A9180 0000C403
	ds_write_b64 v3, v[198:199] offset:45952                   // 000000007CB0: D89AB380 0000C603
	ds_write_b64 v3, v[200:201] offset:39424                   // 000000007CB8: D89A9A00 0000C803
	ds_write_b64 v3, v[202:203] offset:48128                   // 000000007CC0: D89ABC00 0000CA03
	ds_write_b64 v3, v[204:205] offset:41600                   // 000000007CC8: D89AA280 0000CC03
	ds_write_b64 v3, v[206:207] offset:50304                   // 000000007CD0: D89AC480 0000CE03
	s_waitcnt lgkmcnt(0)                                       // 000000007CD8: BF8CC07F
	s_barrier                                                  // 000000007CDC: BF8A0000
	ds_read_b32 v64, v4 offset:35072                           // 000000007CE0: D86C8900 40000004
	ds_read_b32 v65, v4 offset:39424                           // 000000007CE8: D86C9A00 41000004
	ds_read_b32 v66, v4 offset:35104                           // 000000007CF0: D86C8920 42000004
	ds_read_b32 v67, v4 offset:39456                           // 000000007CF8: D86C9A20 43000004
	ds_read_b32 v68, v4 offset:35136                           // 000000007D00: D86C8940 44000004
	ds_read_b32 v69, v4 offset:39488                           // 000000007D08: D86C9A40 45000004
	ds_read_b32 v70, v4 offset:35168                           // 000000007D10: D86C8960 46000004
	ds_read_b32 v71, v4 offset:39520                           // 000000007D18: D86C9A60 47000004
	ds_read_b32 v72, v4 offset:43776                           // 000000007D20: D86CAB00 48000004
	ds_read_b32 v73, v4 offset:48128                           // 000000007D28: D86CBC00 49000004
	ds_read_b32 v74, v4 offset:43808                           // 000000007D30: D86CAB20 4A000004
	ds_read_b32 v75, v4 offset:48160                           // 000000007D38: D86CBC20 4B000004
	ds_read_b32 v76, v4 offset:43840                           // 000000007D40: D86CAB40 4C000004
	ds_read_b32 v77, v4 offset:48192                           // 000000007D48: D86CBC40 4D000004
	ds_read_b32 v78, v4 offset:43872                           // 000000007D50: D86CAB60 4E000004
	ds_read_b32 v79, v4 offset:48224                           // 000000007D58: D86CBC60 4F000004
	s_waitcnt lgkmcnt(0)                                       // 000000007D60: BF8CC07F
	s_mov_b64 exec, s[20:21]                                   // 000000007D64: BEFE0114
	global_atomic_pk_add_bf16 v80, v64, s[8:9]                 // 000000007D68: DD488000 00084050
	s_mov_b64 exec, s[36:37]                                   // 000000007D70: BEFE0124
	s_mov_b64 exec, s[20:21]                                   // 000000007D74: BEFE0114
	global_atomic_pk_add_bf16 v80, v65, s[8:9] offset:256      // 000000007D78: DD488100 00084150
	s_mov_b64 exec, s[36:37]                                   // 000000007D80: BEFE0124
	s_mov_b64 exec, s[22:23]                                   // 000000007D84: BEFE0116
	global_atomic_pk_add_bf16 v82, v66, s[8:9]                 // 000000007D88: DD488000 00084252
	s_mov_b64 exec, s[36:37]                                   // 000000007D90: BEFE0124
	s_mov_b64 exec, s[22:23]                                   // 000000007D94: BEFE0116
	global_atomic_pk_add_bf16 v82, v67, s[8:9] offset:256      // 000000007D98: DD488100 00084352
	s_mov_b64 exec, s[36:37]                                   // 000000007DA0: BEFE0124
	s_mov_b64 exec, s[24:25]                                   // 000000007DA4: BEFE0118
	global_atomic_pk_add_bf16 v84, v68, s[8:9]                 // 000000007DA8: DD488000 00084454
	s_mov_b64 exec, s[36:37]                                   // 000000007DB0: BEFE0124
	s_mov_b64 exec, s[24:25]                                   // 000000007DB4: BEFE0118
	global_atomic_pk_add_bf16 v84, v69, s[8:9] offset:256      // 000000007DB8: DD488100 00084554
	s_mov_b64 exec, s[36:37]                                   // 000000007DC0: BEFE0124
	s_mov_b64 exec, s[26:27]                                   // 000000007DC4: BEFE011A
	global_atomic_pk_add_bf16 v86, v70, s[8:9]                 // 000000007DC8: DD488000 00084656
	s_mov_b64 exec, s[36:37]                                   // 000000007DD0: BEFE0124
	s_mov_b64 exec, s[26:27]                                   // 000000007DD4: BEFE011A
	global_atomic_pk_add_bf16 v86, v71, s[8:9] offset:256      // 000000007DD8: DD488100 00084756
	s_mov_b64 exec, s[36:37]                                   // 000000007DE0: BEFE0124
	s_mov_b64 exec, s[28:29]                                   // 000000007DE4: BEFE011C
	global_atomic_pk_add_bf16 v88, v72, s[8:9]                 // 000000007DE8: DD488000 00084858
	s_mov_b64 exec, s[36:37]                                   // 000000007DF0: BEFE0124
	s_mov_b64 exec, s[28:29]                                   // 000000007DF4: BEFE011C
	global_atomic_pk_add_bf16 v88, v73, s[8:9] offset:256      // 000000007DF8: DD488100 00084958
	s_mov_b64 exec, s[36:37]                                   // 000000007E00: BEFE0124
	s_mov_b64 exec, s[30:31]                                   // 000000007E04: BEFE011E
	global_atomic_pk_add_bf16 v90, v74, s[8:9]                 // 000000007E08: DD488000 00084A5A
	s_mov_b64 exec, s[36:37]                                   // 000000007E10: BEFE0124
	s_mov_b64 exec, s[30:31]                                   // 000000007E14: BEFE011E
	global_atomic_pk_add_bf16 v90, v75, s[8:9] offset:256      // 000000007E18: DD488100 00084B5A
	s_mov_b64 exec, s[36:37]                                   // 000000007E20: BEFE0124
	s_mov_b64 exec, s[32:33]                                   // 000000007E24: BEFE0120
	global_atomic_pk_add_bf16 v92, v76, s[8:9]                 // 000000007E28: DD488000 00084C5C
	s_mov_b64 exec, s[36:37]                                   // 000000007E30: BEFE0124
	s_mov_b64 exec, s[32:33]                                   // 000000007E34: BEFE0120
	global_atomic_pk_add_bf16 v92, v77, s[8:9] offset:256      // 000000007E38: DD488100 00084D5C
	s_mov_b64 exec, s[36:37]                                   // 000000007E40: BEFE0124
	s_mov_b64 exec, s[34:35]                                   // 000000007E44: BEFE0122
	global_atomic_pk_add_bf16 v94, v78, s[8:9]                 // 000000007E48: DD488000 00084E5E
	s_mov_b64 exec, s[36:37]                                   // 000000007E50: BEFE0124
	s_mov_b64 exec, s[34:35]                                   // 000000007E54: BEFE0122
	global_atomic_pk_add_bf16 v94, v79, s[8:9] offset:256      // 000000007E58: DD488100 00084F5E
	s_mov_b64 exec, s[36:37]                                   // 000000007E60: BEFE0124
	s_add_u32 s8, s59, s8                                      // 000000007E64: 8008083B
	s_addc_u32 s9, 0, s9                                       // 000000007E68: 82090980
	s_addk_i32 s80, 0x100                                      // 000000007E6C: B7500100
	s_cmp_lt_i32 s80, s81                                      // 000000007E70: BF045150
	s_cbranch_scc0 label_177A                                  // 000000007E74: BF84035C
	s_waitcnt vmcnt(45)                                        // 000000007E78: BF8C8F7D
	s_barrier                                                  // 000000007E7C: BF8A0000
	v_mfma_i32_16x16x32_i8 v[224:227], a[128:129], v[128:129], 0// 000000007E80: D3D700E0 0A030180
	v_mfma_i32_16x16x32_i8 v[224:227], a[130:131], v[130:131], v[224:227]// 000000007E88: D3D700E0 0F830582
	buffer_load_dwordx4 a[0:3], v42, s[12:15], 0 offen         // 000000007E90: E05C1000 8083002A
	v_mfma_i32_16x16x32_i8 v[228:231], a[128:129], v[160:161], 0// 000000007E98: D3D700E4 0A034180
	v_mfma_i32_16x16x32_i8 v[228:231], a[130:131], v[162:163], v[228:231]// 000000007EA0: D3D700E4 0F934582
	v_mfma_i32_16x16x32_i8 v[232:235], a[132:133], v[128:129], 0// 000000007EA8: D3D700E8 0A030184
	v_mfma_i32_16x16x32_i8 v[232:235], a[134:135], v[130:131], v[232:235]// 000000007EB0: D3D700E8 0FA30586
	buffer_load_dwordx4 a[4:7], v43, s[12:15], 0 offen         // 000000007EB8: E05C1000 8083042B
	v_mfma_i32_16x16x32_i8 v[236:239], a[132:133], v[160:161], 0// 000000007EC0: D3D700EC 0A034184
	v_mfma_i32_16x16x32_i8 v[236:239], a[134:135], v[162:163], v[236:239]// 000000007EC8: D3D700EC 0FB34586
	v_mfma_i32_16x16x32_i8 v[240:243], a[136:137], v[128:129], 0// 000000007ED0: D3D700F0 0A030188
	v_mfma_i32_16x16x32_i8 v[240:243], a[138:139], v[130:131], v[240:243]// 000000007ED8: D3D700F0 0FC3058A
	buffer_load_dwordx4 a[8:11], v44, s[12:15], 0 offen        // 000000007EE0: E05C1000 8083082C
	v_mfma_i32_16x16x32_i8 v[244:247], a[136:137], v[160:161], 0// 000000007EE8: D3D700F4 0A034188
	v_mfma_i32_16x16x32_i8 v[244:247], a[138:139], v[162:163], v[244:247]// 000000007EF0: D3D700F4 0FD3458A
	v_mfma_i32_16x16x32_i8 v[248:251], a[140:141], v[128:129], 0// 000000007EF8: D3D700F8 0A03018C
	v_mfma_i32_16x16x32_i8 v[248:251], a[142:143], v[130:131], v[248:251]// 000000007F00: D3D700F8 0FE3058E
	buffer_load_dwordx4 a[12:15], v45, s[12:15], 0 offen       // 000000007F08: E05C1000 80830C2D
	s_add_u32 s12, s78, s12                                    // 000000007F10: 800C0C4E
	s_addc_u32 s13, 0, s13                                     // 000000007F14: 820D0D80
	v_mfma_i32_16x16x32_i8 v[252:255], a[140:141], v[160:161], 0// 000000007F18: D3D700FC 0A03418C
	v_mfma_i32_16x16x32_i8 v[252:255], a[142:143], v[162:163], v[252:255]// 000000007F20: D3D700FC 0FF3458E
	s_waitcnt vmcnt(45)                                        // 000000007F28: BF8C8F7D
	v_mfma_i32_16x16x32_i8 v[224:227], a[144:145], v[132:133], v[224:227]// 000000007F2C: D3D700E0 0F830990
	v_mfma_i32_16x16x32_i8 v[224:227], a[146:147], v[134:135], v[224:227]// 000000007F34: D3D700E0 0F830D92
	buffer_load_dwordx4 a[16:19], v42, s[12:15], 0 offen       // 000000007F3C: E05C1000 8083102A
	v_mfma_i32_16x16x32_i8 v[228:231], a[144:145], v[164:165], v[228:231]// 000000007F44: D3D700E4 0F934990
	v_mfma_i32_16x16x32_i8 v[228:231], a[146:147], v[166:167], v[228:231]// 000000007F4C: D3D700E4 0F934D92
	v_mfma_i32_16x16x32_i8 v[232:235], a[148:149], v[132:133], v[232:235]// 000000007F54: D3D700E8 0FA30994
	v_mfma_i32_16x16x32_i8 v[232:235], a[150:151], v[134:135], v[232:235]// 000000007F5C: D3D700E8 0FA30D96
	buffer_load_dwordx4 a[20:23], v43, s[12:15], 0 offen       // 000000007F64: E05C1000 8083142B
	v_mfma_i32_16x16x32_i8 v[236:239], a[148:149], v[164:165], v[236:239]// 000000007F6C: D3D700EC 0FB34994
	v_mfma_i32_16x16x32_i8 v[236:239], a[150:151], v[166:167], v[236:239]// 000000007F74: D3D700EC 0FB34D96
	v_mfma_i32_16x16x32_i8 v[240:243], a[152:153], v[132:133], v[240:243]// 000000007F7C: D3D700F0 0FC30998
	v_mfma_i32_16x16x32_i8 v[240:243], a[154:155], v[134:135], v[240:243]// 000000007F84: D3D700F0 0FC30D9A
	buffer_load_dwordx4 a[24:27], v44, s[12:15], 0 offen       // 000000007F8C: E05C1000 8083182C
	v_mfma_i32_16x16x32_i8 v[244:247], a[152:153], v[164:165], v[244:247]// 000000007F94: D3D700F4 0FD34998
	v_mfma_i32_16x16x32_i8 v[244:247], a[154:155], v[166:167], v[244:247]// 000000007F9C: D3D700F4 0FD34D9A
	v_mfma_i32_16x16x32_i8 v[248:251], a[156:157], v[132:133], v[248:251]// 000000007FA4: D3D700F8 0FE3099C
	v_mfma_i32_16x16x32_i8 v[248:251], a[158:159], v[134:135], v[248:251]// 000000007FAC: D3D700F8 0FE30D9E
	buffer_load_dwordx4 a[28:31], v45, s[12:15], 0 offen       // 000000007FB4: E05C1000 80831C2D
	s_add_u32 s12, s78, s12                                    // 000000007FBC: 800C0C4E
	s_addc_u32 s13, 0, s13                                     // 000000007FC0: 820D0D80
	v_mfma_i32_16x16x32_i8 v[252:255], a[156:157], v[164:165], v[252:255]// 000000007FC4: D3D700FC 0FF3499C
	v_mfma_i32_16x16x32_i8 v[252:255], a[158:159], v[166:167], v[252:255]// 000000007FCC: D3D700FC 0FF34D9E
	s_waitcnt vmcnt(45)                                        // 000000007FD4: BF8C8F7D
	v_mfma_i32_16x16x32_i8 v[224:227], a[160:161], v[136:137], v[224:227]// 000000007FD8: D3D700E0 0F8311A0
	v_mfma_i32_16x16x32_i8 v[224:227], a[162:163], v[138:139], v[224:227]// 000000007FE0: D3D700E0 0F8315A2
	buffer_load_dwordx4 a[32:35], v42, s[12:15], 0 offen       // 000000007FE8: E05C1000 8083202A
	v_mfma_i32_16x16x32_i8 v[228:231], a[160:161], v[168:169], v[228:231]// 000000007FF0: D3D700E4 0F9351A0
	v_mfma_i32_16x16x32_i8 v[228:231], a[162:163], v[170:171], v[228:231]// 000000007FF8: D3D700E4 0F9355A2
	v_mfma_i32_16x16x32_i8 v[232:235], a[164:165], v[136:137], v[232:235]// 000000008000: D3D700E8 0FA311A4
	v_mfma_i32_16x16x32_i8 v[232:235], a[166:167], v[138:139], v[232:235]// 000000008008: D3D700E8 0FA315A6
	buffer_load_dwordx4 a[36:39], v43, s[12:15], 0 offen       // 000000008010: E05C1000 8083242B
	v_mfma_i32_16x16x32_i8 v[236:239], a[164:165], v[168:169], v[236:239]// 000000008018: D3D700EC 0FB351A4
	v_mfma_i32_16x16x32_i8 v[236:239], a[166:167], v[170:171], v[236:239]// 000000008020: D3D700EC 0FB355A6
	v_mfma_i32_16x16x32_i8 v[240:243], a[168:169], v[136:137], v[240:243]// 000000008028: D3D700F0 0FC311A8
	v_mfma_i32_16x16x32_i8 v[240:243], a[170:171], v[138:139], v[240:243]// 000000008030: D3D700F0 0FC315AA
	buffer_load_dwordx4 a[40:43], v44, s[12:15], 0 offen       // 000000008038: E05C1000 8083282C
	v_mfma_i32_16x16x32_i8 v[244:247], a[168:169], v[168:169], v[244:247]// 000000008040: D3D700F4 0FD351A8
	v_mfma_i32_16x16x32_i8 v[244:247], a[170:171], v[170:171], v[244:247]// 000000008048: D3D700F4 0FD355AA
	v_mfma_i32_16x16x32_i8 v[248:251], a[172:173], v[136:137], v[248:251]// 000000008050: D3D700F8 0FE311AC
	v_mfma_i32_16x16x32_i8 v[248:251], a[174:175], v[138:139], v[248:251]// 000000008058: D3D700F8 0FE315AE
	buffer_load_dwordx4 a[44:47], v45, s[12:15], 0 offen       // 000000008060: E05C1000 80832C2D
	s_add_u32 s12, s78, s12                                    // 000000008068: 800C0C4E
	s_addc_u32 s13, 0, s13                                     // 00000000806C: 820D0D80
	v_mfma_i32_16x16x32_i8 v[252:255], a[172:173], v[168:169], v[252:255]// 000000008070: D3D700FC 0FF351AC
	v_mfma_i32_16x16x32_i8 v[252:255], a[174:175], v[170:171], v[252:255]// 000000008078: D3D700FC 0FF355AE
	s_waitcnt vmcnt(45)                                        // 000000008080: BF8C8F7D
	v_mfma_i32_16x16x32_i8 v[224:227], a[176:177], v[140:141], v[224:227]// 000000008084: D3D700E0 0F8319B0
	v_mfma_i32_16x16x32_i8 v[224:227], a[178:179], v[142:143], v[224:227]// 00000000808C: D3D700E0 0F831DB2
	buffer_load_dwordx4 a[48:51], v42, s[12:15], 0 offen       // 000000008094: E05C1000 8083302A
	v_mfma_i32_16x16x32_i8 v[228:231], a[176:177], v[172:173], v[228:231]// 00000000809C: D3D700E4 0F9359B0
	v_mfma_i32_16x16x32_i8 v[228:231], a[178:179], v[174:175], v[228:231]// 0000000080A4: D3D700E4 0F935DB2
	v_mfma_i32_16x16x32_i8 v[232:235], a[180:181], v[140:141], v[232:235]// 0000000080AC: D3D700E8 0FA319B4
	v_mfma_i32_16x16x32_i8 v[232:235], a[182:183], v[142:143], v[232:235]// 0000000080B4: D3D700E8 0FA31DB6
	buffer_load_dwordx4 a[52:55], v43, s[12:15], 0 offen       // 0000000080BC: E05C1000 8083342B
	v_mfma_i32_16x16x32_i8 v[236:239], a[180:181], v[172:173], v[236:239]// 0000000080C4: D3D700EC 0FB359B4
	v_mfma_i32_16x16x32_i8 v[236:239], a[182:183], v[174:175], v[236:239]// 0000000080CC: D3D700EC 0FB35DB6
	v_mfma_i32_16x16x32_i8 v[240:243], a[184:185], v[140:141], v[240:243]// 0000000080D4: D3D700F0 0FC319B8
	v_mfma_i32_16x16x32_i8 v[240:243], a[186:187], v[142:143], v[240:243]// 0000000080DC: D3D700F0 0FC31DBA
	buffer_load_dwordx4 a[56:59], v44, s[12:15], 0 offen       // 0000000080E4: E05C1000 8083382C
	v_mfma_i32_16x16x32_i8 v[244:247], a[184:185], v[172:173], v[244:247]// 0000000080EC: D3D700F4 0FD359B8
	v_mfma_i32_16x16x32_i8 v[244:247], a[186:187], v[174:175], v[244:247]// 0000000080F4: D3D700F4 0FD35DBA
	v_mfma_i32_16x16x32_i8 v[248:251], a[188:189], v[140:141], v[248:251]// 0000000080FC: D3D700F8 0FE319BC
	v_mfma_i32_16x16x32_i8 v[248:251], a[190:191], v[142:143], v[248:251]// 000000008104: D3D700F8 0FE31DBE
	buffer_load_dwordx4 a[60:63], v45, s[12:15], 0 offen       // 00000000810C: E05C1000 80833C2D
	s_add_u32 s12, s78, s12                                    // 000000008114: 800C0C4E
	s_addc_u32 s13, 0, s13                                     // 000000008118: 820D0D80
	v_mfma_i32_16x16x32_i8 v[252:255], a[188:189], v[172:173], v[252:255]// 00000000811C: D3D700FC 0FF359BC
	v_mfma_i32_16x16x32_i8 v[252:255], a[190:191], v[174:175], v[252:255]// 000000008124: D3D700FC 0FF35DBE
	s_waitcnt vmcnt(45)                                        // 00000000812C: BF8C8F7D
	v_mfma_i32_16x16x32_i8 v[224:227], a[192:193], v[144:145], v[224:227]// 000000008130: D3D700E0 0F8321C0
	v_mfma_i32_16x16x32_i8 v[224:227], a[194:195], v[146:147], v[224:227]// 000000008138: D3D700E0 0F8325C2
	buffer_load_dwordx4 a[64:67], v42, s[12:15], 0 offen       // 000000008140: E05C1000 8083402A
	v_mfma_i32_16x16x32_i8 v[228:231], a[192:193], v[176:177], v[228:231]// 000000008148: D3D700E4 0F9361C0
	v_mfma_i32_16x16x32_i8 v[228:231], a[194:195], v[178:179], v[228:231]// 000000008150: D3D700E4 0F9365C2
	v_mfma_i32_16x16x32_i8 v[232:235], a[196:197], v[144:145], v[232:235]// 000000008158: D3D700E8 0FA321C4
	v_mfma_i32_16x16x32_i8 v[232:235], a[198:199], v[146:147], v[232:235]// 000000008160: D3D700E8 0FA325C6
	buffer_load_dwordx4 a[68:71], v43, s[12:15], 0 offen       // 000000008168: E05C1000 8083442B
	v_mfma_i32_16x16x32_i8 v[236:239], a[196:197], v[176:177], v[236:239]// 000000008170: D3D700EC 0FB361C4
	v_mfma_i32_16x16x32_i8 v[236:239], a[198:199], v[178:179], v[236:239]// 000000008178: D3D700EC 0FB365C6
	v_mfma_i32_16x16x32_i8 v[240:243], a[200:201], v[144:145], v[240:243]// 000000008180: D3D700F0 0FC321C8
	v_mfma_i32_16x16x32_i8 v[240:243], a[202:203], v[146:147], v[240:243]// 000000008188: D3D700F0 0FC325CA
	buffer_load_dwordx4 a[72:75], v44, s[12:15], 0 offen       // 000000008190: E05C1000 8083482C
	v_mfma_i32_16x16x32_i8 v[244:247], a[200:201], v[176:177], v[244:247]// 000000008198: D3D700F4 0FD361C8
	v_mfma_i32_16x16x32_i8 v[244:247], a[202:203], v[178:179], v[244:247]// 0000000081A0: D3D700F4 0FD365CA
	v_mfma_i32_16x16x32_i8 v[248:251], a[204:205], v[144:145], v[248:251]// 0000000081A8: D3D700F8 0FE321CC
	v_mfma_i32_16x16x32_i8 v[248:251], a[206:207], v[146:147], v[248:251]// 0000000081B0: D3D700F8 0FE325CE
	buffer_load_dwordx4 a[76:79], v45, s[12:15], 0 offen       // 0000000081B8: E05C1000 80834C2D
	s_add_u32 s12, s78, s12                                    // 0000000081C0: 800C0C4E
	s_addc_u32 s13, 0, s13                                     // 0000000081C4: 820D0D80
	v_mfma_i32_16x16x32_i8 v[252:255], a[204:205], v[176:177], v[252:255]// 0000000081C8: D3D700FC 0FF361CC
	v_mfma_i32_16x16x32_i8 v[252:255], a[206:207], v[178:179], v[252:255]// 0000000081D0: D3D700FC 0FF365CE
	s_waitcnt vmcnt(45)                                        // 0000000081D8: BF8C8F7D
	v_mfma_i32_16x16x32_i8 v[224:227], a[208:209], v[148:149], v[224:227]// 0000000081DC: D3D700E0 0F8329D0
	v_mfma_i32_16x16x32_i8 v[224:227], a[210:211], v[150:151], v[224:227]// 0000000081E4: D3D700E0 0F832DD2
	buffer_load_dwordx4 a[80:83], v42, s[12:15], 0 offen       // 0000000081EC: E05C1000 8083502A
	v_mfma_i32_16x16x32_i8 v[228:231], a[208:209], v[180:181], v[228:231]// 0000000081F4: D3D700E4 0F9369D0
	v_mfma_i32_16x16x32_i8 v[228:231], a[210:211], v[182:183], v[228:231]// 0000000081FC: D3D700E4 0F936DD2
	v_mfma_i32_16x16x32_i8 v[232:235], a[212:213], v[148:149], v[232:235]// 000000008204: D3D700E8 0FA329D4
	v_mfma_i32_16x16x32_i8 v[232:235], a[214:215], v[150:151], v[232:235]// 00000000820C: D3D700E8 0FA32DD6
	buffer_load_dwordx4 a[84:87], v43, s[12:15], 0 offen       // 000000008214: E05C1000 8083542B
	v_mfma_i32_16x16x32_i8 v[236:239], a[212:213], v[180:181], v[236:239]// 00000000821C: D3D700EC 0FB369D4
	v_mfma_i32_16x16x32_i8 v[236:239], a[214:215], v[182:183], v[236:239]// 000000008224: D3D700EC 0FB36DD6
	v_mfma_i32_16x16x32_i8 v[240:243], a[216:217], v[148:149], v[240:243]// 00000000822C: D3D700F0 0FC329D8
	v_mfma_i32_16x16x32_i8 v[240:243], a[218:219], v[150:151], v[240:243]// 000000008234: D3D700F0 0FC32DDA
	buffer_load_dwordx4 a[88:91], v44, s[12:15], 0 offen       // 00000000823C: E05C1000 8083582C
	v_mfma_i32_16x16x32_i8 v[244:247], a[216:217], v[180:181], v[244:247]// 000000008244: D3D700F4 0FD369D8
	v_mfma_i32_16x16x32_i8 v[244:247], a[218:219], v[182:183], v[244:247]// 00000000824C: D3D700F4 0FD36DDA
	v_mfma_i32_16x16x32_i8 v[248:251], a[220:221], v[148:149], v[248:251]// 000000008254: D3D700F8 0FE329DC
	v_mfma_i32_16x16x32_i8 v[248:251], a[222:223], v[150:151], v[248:251]// 00000000825C: D3D700F8 0FE32DDE
	buffer_load_dwordx4 a[92:95], v45, s[12:15], 0 offen       // 000000008264: E05C1000 80835C2D
	s_add_u32 s12, s78, s12                                    // 00000000826C: 800C0C4E
	s_addc_u32 s13, 0, s13                                     // 000000008270: 820D0D80
	v_mfma_i32_16x16x32_i8 v[252:255], a[220:221], v[180:181], v[252:255]// 000000008274: D3D700FC 0FF369DC
	v_mfma_i32_16x16x32_i8 v[252:255], a[222:223], v[182:183], v[252:255]// 00000000827C: D3D700FC 0FF36DDE
	s_waitcnt vmcnt(45)                                        // 000000008284: BF8C8F7D
	v_mfma_i32_16x16x32_i8 v[224:227], a[224:225], v[152:153], v[224:227]// 000000008288: D3D700E0 0F8331E0
	v_mfma_i32_16x16x32_i8 v[224:227], a[226:227], v[154:155], v[224:227]// 000000008290: D3D700E0 0F8335E2
	buffer_load_dwordx4 a[96:99], v42, s[12:15], 0 offen       // 000000008298: E05C1000 8083602A
	v_mfma_i32_16x16x32_i8 v[228:231], a[224:225], v[184:185], v[228:231]// 0000000082A0: D3D700E4 0F9371E0
	v_mfma_i32_16x16x32_i8 v[228:231], a[226:227], v[186:187], v[228:231]// 0000000082A8: D3D700E4 0F9375E2
	v_mfma_i32_16x16x32_i8 v[232:235], a[228:229], v[152:153], v[232:235]// 0000000082B0: D3D700E8 0FA331E4
	v_mfma_i32_16x16x32_i8 v[232:235], a[230:231], v[154:155], v[232:235]// 0000000082B8: D3D700E8 0FA335E6
	buffer_load_dwordx4 a[100:103], v43, s[12:15], 0 offen     // 0000000082C0: E05C1000 8083642B
	v_mfma_i32_16x16x32_i8 v[236:239], a[228:229], v[184:185], v[236:239]// 0000000082C8: D3D700EC 0FB371E4
	v_mfma_i32_16x16x32_i8 v[236:239], a[230:231], v[186:187], v[236:239]// 0000000082D0: D3D700EC 0FB375E6
	v_mfma_i32_16x16x32_i8 v[240:243], a[232:233], v[152:153], v[240:243]// 0000000082D8: D3D700F0 0FC331E8
	v_mfma_i32_16x16x32_i8 v[240:243], a[234:235], v[154:155], v[240:243]// 0000000082E0: D3D700F0 0FC335EA
	buffer_load_dwordx4 a[104:107], v44, s[12:15], 0 offen     // 0000000082E8: E05C1000 8083682C
	v_mfma_i32_16x16x32_i8 v[244:247], a[232:233], v[184:185], v[244:247]// 0000000082F0: D3D700F4 0FD371E8
	v_mfma_i32_16x16x32_i8 v[244:247], a[234:235], v[186:187], v[244:247]// 0000000082F8: D3D700F4 0FD375EA
	v_mfma_i32_16x16x32_i8 v[248:251], a[236:237], v[152:153], v[248:251]// 000000008300: D3D700F8 0FE331EC
	v_mfma_i32_16x16x32_i8 v[248:251], a[238:239], v[154:155], v[248:251]// 000000008308: D3D700F8 0FE335EE
	buffer_load_dwordx4 a[108:111], v45, s[12:15], 0 offen     // 000000008310: E05C1000 80836C2D
	s_add_u32 s12, s78, s12                                    // 000000008318: 800C0C4E
	s_addc_u32 s13, 0, s13                                     // 00000000831C: 820D0D80
	v_mfma_i32_16x16x32_i8 v[252:255], a[236:237], v[184:185], v[252:255]// 000000008320: D3D700FC 0FF371EC
	v_mfma_i32_16x16x32_i8 v[252:255], a[238:239], v[186:187], v[252:255]// 000000008328: D3D700FC 0FF375EE
	s_waitcnt vmcnt(44)                                        // 000000008330: BF8C8F7C
	v_mfma_i32_16x16x32_i8 v[224:227], a[240:241], v[156:157], v[224:227]// 000000008334: D3D700E0 0F8339F0
	v_mfma_i32_16x16x32_i8 v[224:227], a[242:243], v[158:159], v[224:227]// 00000000833C: D3D700E0 0F833DF2
	buffer_load_dwordx4 a[112:115], v42, s[12:15], 0 offen     // 000000008344: E05C1000 8083702A
	v_mfma_i32_16x16x32_i8 v[228:231], a[240:241], v[188:189], v[228:231]// 00000000834C: D3D700E4 0F9379F0
	v_mfma_i32_16x16x32_i8 v[228:231], a[242:243], v[190:191], v[228:231]// 000000008354: D3D700E4 0F937DF2
	buffer_load_dword v12, v5, s[16:19], 0 offen               // 00000000835C: E0501000 80040C05
	v_mfma_i32_16x16x32_i8 v[232:235], a[244:245], v[156:157], v[232:235]// 000000008364: D3D700E8 0FA339F4
	v_mfma_i32_16x16x32_i8 v[232:235], a[246:247], v[158:159], v[232:235]// 00000000836C: D3D700E8 0FA33DF6
	buffer_load_dwordx4 a[116:119], v43, s[12:15], 0 offen     // 000000008374: E05C1000 8083742B
	v_mfma_i32_16x16x32_i8 v[236:239], a[244:245], v[188:189], v[236:239]// 00000000837C: D3D700EC 0FB379F4
	v_mfma_i32_16x16x32_i8 v[236:239], a[246:247], v[190:191], v[236:239]// 000000008384: D3D700EC 0FB37DF6
	v_mfma_i32_16x16x32_i8 v[240:243], a[248:249], v[156:157], v[240:243]// 00000000838C: D3D700F0 0FC339F8
	v_mfma_i32_16x16x32_i8 v[240:243], a[250:251], v[158:159], v[240:243]// 000000008394: D3D700F0 0FC33DFA
	buffer_load_dwordx4 a[120:123], v44, s[12:15], 0 offen     // 00000000839C: E05C1000 8083782C
	v_mfma_i32_16x16x32_i8 v[244:247], a[248:249], v[188:189], v[244:247]// 0000000083A4: D3D700F4 0FD379F8
	v_mfma_i32_16x16x32_i8 v[244:247], a[250:251], v[190:191], v[244:247]// 0000000083AC: D3D700F4 0FD37DFA
	v_mfma_i32_16x16x32_i8 v[248:251], a[252:253], v[156:157], v[248:251]// 0000000083B4: D3D700F8 0FE339FC
	v_mfma_i32_16x16x32_i8 v[248:251], a[254:255], v[158:159], v[248:251]// 0000000083BC: D3D700F8 0FE33DFE
	buffer_load_dwordx4 a[124:127], v45, s[12:15], 0 offen     // 0000000083C4: E05C1000 80837C2D
	v_mfma_i32_16x16x32_i8 v[252:255], a[252:253], v[188:189], v[252:255]// 0000000083CC: D3D700FC 0FF379FC
	v_mfma_i32_16x16x32_i8 v[252:255], a[254:255], v[190:191], v[252:255]// 0000000083D4: D3D700FC 0FF37DFE
	s_add_u32 s60, 0x200, s80                                  // 0000000083DC: 803C50FF 00000200
	s_cmp_lt_u32 s60, s81                                      // 0000000083E4: BF0A513C
	s_cselect_b32 s56, s56, 0                                  // 0000000083E8: 85388038
	s_cselect_b32 s78, s78, 0                                  // 0000000083EC: 854E804E
	s_cselect_b32 s79, s79, 0                                  // 0000000083F0: 854F804F
	s_add_u32 s12, s56, s12                                    // 0000000083F4: 800C0C38
	s_addc_u32 s13, 0, s13                                     // 0000000083F8: 820D0D80
	s_add_u32 s16, s79, s16                                    // 0000000083FC: 8010104F
	s_addc_u32 s17, 0, s17                                     // 000000008400: 82111180
	v_cvt_f32_i32_e32 v224, v224                               // 000000008404: 7FC00BE0
	v_cvt_f32_i32_e32 v225, v225                               // 000000008408: 7FC20BE1
	v_cvt_f32_i32_e32 v226, v226                               // 00000000840C: 7FC40BE2
	v_cvt_f32_i32_e32 v227, v227                               // 000000008410: 7FC60BE3
	v_mul_f32_e32 v224, v24, v224                              // 000000008414: 0BC1C118
	v_mul_f32_e32 v225, v24, v225                              // 000000008418: 0BC3C318
	v_mul_f32_e32 v226, v24, v226                              // 00000000841C: 0BC5C518
	v_mul_f32_e32 v227, v24, v227                              // 000000008420: 0BC7C718
	v_mul_f32_dpp v224, v13, v224 row_newbcast:0 row_mask:0xf bank_mask:0xf// 000000008424: 0BC1C0FA FF01500D
	v_mul_f32_dpp v225, v13, v225 row_newbcast:1 row_mask:0xf bank_mask:0xf// 00000000842C: 0BC3C2FA FF01510D
	v_mul_f32_dpp v226, v13, v226 row_newbcast:2 row_mask:0xf bank_mask:0xf// 000000008434: 0BC5C4FA FF01520D
	v_mul_f32_dpp v227, v13, v227 row_newbcast:3 row_mask:0xf bank_mask:0xf// 00000000843C: 0BC7C6FA FF01530D
	v_mul_f32_e32 v224, v20, v224                              // 000000008444: 0BC1C114
	v_mul_f32_e32 v225, v20, v225                              // 000000008448: 0BC3C314
	v_mul_f32_e32 v226, v20, v226                              // 00000000844C: 0BC5C514
	v_mul_f32_e32 v227, v20, v227                              // 000000008450: 0BC7C714
	v_cvt_f32_i32_e32 v228, v228                               // 000000008454: 7FC80BE4
	v_cvt_f32_i32_e32 v229, v229                               // 000000008458: 7FCA0BE5
	v_cvt_f32_i32_e32 v230, v230                               // 00000000845C: 7FCC0BE6
	v_cvt_f32_i32_e32 v231, v231                               // 000000008460: 7FCE0BE7
	v_mul_f32_e32 v228, v25, v228                              // 000000008464: 0BC9C919
	v_mul_f32_e32 v229, v25, v229                              // 000000008468: 0BCBCB19
	v_mul_f32_e32 v230, v25, v230                              // 00000000846C: 0BCDCD19
	v_mul_f32_e32 v231, v25, v231                              // 000000008470: 0BCFCF19
	v_mul_f32_dpp v228, v13, v228 row_newbcast:0 row_mask:0xf bank_mask:0xf// 000000008474: 0BC9C8FA FF01500D
	v_mul_f32_dpp v229, v13, v229 row_newbcast:1 row_mask:0xf bank_mask:0xf// 00000000847C: 0BCBCAFA FF01510D
	v_mul_f32_dpp v230, v13, v230 row_newbcast:2 row_mask:0xf bank_mask:0xf// 000000008484: 0BCDCCFA FF01520D
	v_mul_f32_dpp v231, v13, v231 row_newbcast:3 row_mask:0xf bank_mask:0xf// 00000000848C: 0BCFCEFA FF01530D
	v_mul_f32_e32 v228, v21, v228                              // 000000008494: 0BC9C915
	v_mul_f32_e32 v229, v21, v229                              // 000000008498: 0BCBCB15
	v_mul_f32_e32 v230, v21, v230                              // 00000000849C: 0BCDCD15
	v_mul_f32_e32 v231, v21, v231                              // 0000000084A0: 0BCFCF15
	v_cvt_f32_i32_e32 v232, v232                               // 0000000084A4: 7FD00BE8
	v_cvt_f32_i32_e32 v233, v233                               // 0000000084A8: 7FD20BE9
	v_cvt_f32_i32_e32 v234, v234                               // 0000000084AC: 7FD40BEA
	v_cvt_f32_i32_e32 v235, v235                               // 0000000084B0: 7FD60BEB
	v_mul_f32_e32 v232, v24, v232                              // 0000000084B4: 0BD1D118
	v_mul_f32_e32 v233, v24, v233                              // 0000000084B8: 0BD3D318
	v_mul_f32_e32 v234, v24, v234                              // 0000000084BC: 0BD5D518
	v_mul_f32_e32 v235, v24, v235                              // 0000000084C0: 0BD7D718
	v_mul_f32_dpp v232, v13, v232 row_newbcast:4 row_mask:0xf bank_mask:0xf// 0000000084C4: 0BD1D0FA FF01540D
	v_mul_f32_dpp v233, v13, v233 row_newbcast:5 row_mask:0xf bank_mask:0xf// 0000000084CC: 0BD3D2FA FF01550D
	v_mul_f32_dpp v234, v13, v234 row_newbcast:6 row_mask:0xf bank_mask:0xf// 0000000084D4: 0BD5D4FA FF01560D
	v_mul_f32_dpp v235, v13, v235 row_newbcast:7 row_mask:0xf bank_mask:0xf// 0000000084DC: 0BD7D6FA FF01570D
	v_mul_f32_e32 v232, v20, v232                              // 0000000084E4: 0BD1D114
	v_mul_f32_e32 v233, v20, v233                              // 0000000084E8: 0BD3D314
	v_mul_f32_e32 v234, v20, v234                              // 0000000084EC: 0BD5D514
	v_mul_f32_e32 v235, v20, v235                              // 0000000084F0: 0BD7D714
	v_cvt_f32_i32_e32 v236, v236                               // 0000000084F4: 7FD80BEC
	v_cvt_f32_i32_e32 v237, v237                               // 0000000084F8: 7FDA0BED
	v_cvt_f32_i32_e32 v238, v238                               // 0000000084FC: 7FDC0BEE
	v_cvt_f32_i32_e32 v239, v239                               // 000000008500: 7FDE0BEF
	v_mul_f32_e32 v236, v25, v236                              // 000000008504: 0BD9D919
	v_mul_f32_e32 v237, v25, v237                              // 000000008508: 0BDBDB19
	v_mul_f32_e32 v238, v25, v238                              // 00000000850C: 0BDDDD19
	v_mul_f32_e32 v239, v25, v239                              // 000000008510: 0BDFDF19
	v_mul_f32_dpp v236, v13, v236 row_newbcast:4 row_mask:0xf bank_mask:0xf// 000000008514: 0BD9D8FA FF01540D
	v_mul_f32_dpp v237, v13, v237 row_newbcast:5 row_mask:0xf bank_mask:0xf// 00000000851C: 0BDBDAFA FF01550D
	v_mul_f32_dpp v238, v13, v238 row_newbcast:6 row_mask:0xf bank_mask:0xf// 000000008524: 0BDDDCFA FF01560D
	v_mul_f32_dpp v239, v13, v239 row_newbcast:7 row_mask:0xf bank_mask:0xf// 00000000852C: 0BDFDEFA FF01570D
	v_mul_f32_e32 v236, v21, v236                              // 000000008534: 0BD9D915
	v_mul_f32_e32 v237, v21, v237                              // 000000008538: 0BDBDB15
	v_mul_f32_e32 v238, v21, v238                              // 00000000853C: 0BDDDD15
	v_mul_f32_e32 v239, v21, v239                              // 000000008540: 0BDFDF15
	v_cvt_f32_i32_e32 v240, v240                               // 000000008544: 7FE00BF0
	v_cvt_f32_i32_e32 v241, v241                               // 000000008548: 7FE20BF1
	v_cvt_f32_i32_e32 v242, v242                               // 00000000854C: 7FE40BF2
	v_cvt_f32_i32_e32 v243, v243                               // 000000008550: 7FE60BF3
	v_mul_f32_e32 v240, v24, v240                              // 000000008554: 0BE1E118
	v_mul_f32_e32 v241, v24, v241                              // 000000008558: 0BE3E318
	v_mul_f32_e32 v242, v24, v242                              // 00000000855C: 0BE5E518
	v_mul_f32_e32 v243, v24, v243                              // 000000008560: 0BE7E718
	v_mul_f32_dpp v240, v13, v240 row_newbcast:8 row_mask:0xf bank_mask:0xf// 000000008564: 0BE1E0FA FF01580D
	v_mul_f32_dpp v241, v13, v241 row_newbcast:9 row_mask:0xf bank_mask:0xf// 00000000856C: 0BE3E2FA FF01590D
	v_mul_f32_dpp v242, v13, v242 row_newbcast:10 row_mask:0xf bank_mask:0xf// 000000008574: 0BE5E4FA FF015A0D
	v_mul_f32_dpp v243, v13, v243 row_newbcast:11 row_mask:0xf bank_mask:0xf// 00000000857C: 0BE7E6FA FF015B0D
	v_mul_f32_e32 v240, v20, v240                              // 000000008584: 0BE1E114
	v_mul_f32_e32 v241, v20, v241                              // 000000008588: 0BE3E314
	v_mul_f32_e32 v242, v20, v242                              // 00000000858C: 0BE5E514
	v_mul_f32_e32 v243, v20, v243                              // 000000008590: 0BE7E714
	v_cvt_f32_i32_e32 v244, v244                               // 000000008594: 7FE80BF4
	v_cvt_f32_i32_e32 v245, v245                               // 000000008598: 7FEA0BF5
	v_cvt_f32_i32_e32 v246, v246                               // 00000000859C: 7FEC0BF6
	v_cvt_f32_i32_e32 v247, v247                               // 0000000085A0: 7FEE0BF7
	v_mul_f32_e32 v244, v25, v244                              // 0000000085A4: 0BE9E919
	v_mul_f32_e32 v245, v25, v245                              // 0000000085A8: 0BEBEB19
	v_mul_f32_e32 v246, v25, v246                              // 0000000085AC: 0BEDED19
	v_mul_f32_e32 v247, v25, v247                              // 0000000085B0: 0BEFEF19
	v_mul_f32_dpp v244, v13, v244 row_newbcast:8 row_mask:0xf bank_mask:0xf// 0000000085B4: 0BE9E8FA FF01580D
	v_mul_f32_dpp v245, v13, v245 row_newbcast:9 row_mask:0xf bank_mask:0xf// 0000000085BC: 0BEBEAFA FF01590D
	v_mul_f32_dpp v246, v13, v246 row_newbcast:10 row_mask:0xf bank_mask:0xf// 0000000085C4: 0BEDECFA FF015A0D
	v_mul_f32_dpp v247, v13, v247 row_newbcast:11 row_mask:0xf bank_mask:0xf// 0000000085CC: 0BEFEEFA FF015B0D
	v_mul_f32_e32 v244, v21, v244                              // 0000000085D4: 0BE9E915
	v_mul_f32_e32 v245, v21, v245                              // 0000000085D8: 0BEBEB15
	v_mul_f32_e32 v246, v21, v246                              // 0000000085DC: 0BEDED15
	v_mul_f32_e32 v247, v21, v247                              // 0000000085E0: 0BEFEF15
	v_cvt_f32_i32_e32 v248, v248                               // 0000000085E4: 7FF00BF8
	v_cvt_f32_i32_e32 v249, v249                               // 0000000085E8: 7FF20BF9
	v_cvt_f32_i32_e32 v250, v250                               // 0000000085EC: 7FF40BFA
	v_cvt_f32_i32_e32 v251, v251                               // 0000000085F0: 7FF60BFB
	v_mul_f32_e32 v248, v24, v248                              // 0000000085F4: 0BF1F118
	v_mul_f32_e32 v249, v24, v249                              // 0000000085F8: 0BF3F318
	v_mul_f32_e32 v250, v24, v250                              // 0000000085FC: 0BF5F518
	v_mul_f32_e32 v251, v24, v251                              // 000000008600: 0BF7F718
	v_mul_f32_dpp v248, v13, v248 row_newbcast:12 row_mask:0xf bank_mask:0xf// 000000008604: 0BF1F0FA FF015C0D
	v_mul_f32_dpp v249, v13, v249 row_newbcast:13 row_mask:0xf bank_mask:0xf// 00000000860C: 0BF3F2FA FF015D0D
	v_mul_f32_dpp v250, v13, v250 row_newbcast:14 row_mask:0xf bank_mask:0xf// 000000008614: 0BF5F4FA FF015E0D
	v_mul_f32_dpp v251, v13, v251 row_newbcast:15 row_mask:0xf bank_mask:0xf// 00000000861C: 0BF7F6FA FF015F0D
	v_mul_f32_e32 v248, v20, v248                              // 000000008624: 0BF1F114
	v_mul_f32_e32 v249, v20, v249                              // 000000008628: 0BF3F314
	v_mul_f32_e32 v250, v20, v250                              // 00000000862C: 0BF5F514
	v_mul_f32_e32 v251, v20, v251                              // 000000008630: 0BF7F714
	v_cvt_f32_i32_e32 v252, v252                               // 000000008634: 7FF80BFC
	v_cvt_f32_i32_e32 v253, v253                               // 000000008638: 7FFA0BFD
	v_cvt_f32_i32_e32 v254, v254                               // 00000000863C: 7FFC0BFE
	v_cvt_f32_i32_e32 v255, v255                               // 000000008640: 7FFE0BFF
	v_mul_f32_e32 v252, v25, v252                              // 000000008644: 0BF9F919
	v_mul_f32_e32 v253, v25, v253                              // 000000008648: 0BFBFB19
	v_mul_f32_e32 v254, v25, v254                              // 00000000864C: 0BFDFD19
	v_mul_f32_e32 v255, v25, v255                              // 000000008650: 0BFFFF19
	v_mul_f32_dpp v252, v13, v252 row_newbcast:12 row_mask:0xf bank_mask:0xf// 000000008654: 0BF9F8FA FF015C0D
	v_mul_f32_dpp v253, v13, v253 row_newbcast:13 row_mask:0xf bank_mask:0xf// 00000000865C: 0BFBFAFA FF015D0D
	v_mul_f32_dpp v254, v13, v254 row_newbcast:14 row_mask:0xf bank_mask:0xf// 000000008664: 0BFDFCFA FF015E0D
	v_mul_f32_dpp v255, v13, v255 row_newbcast:15 row_mask:0xf bank_mask:0xf// 00000000866C: 0BFFFEFA FF015F0D
	v_mul_f32_e32 v252, v21, v252                              // 000000008674: 0BF9F915
	v_mul_f32_e32 v253, v21, v253                              // 000000008678: 0BFBFB15
	v_mul_f32_e32 v254, v21, v254                              // 00000000867C: 0BFDFD15
	v_mul_f32_e32 v255, v21, v255                              // 000000008680: 0BFFFF15
	v_cmp_u_f32_e64 s[48:49], v224, v224                       // 000000008684: D0480030 0003C1E0
	v_add3_u32 v46, v224, v49, 1                               // 00000000868C: D1FF002E 020663E0
	v_cndmask_b32_e64 v52, v46, v48, s[48:49]                  // 000000008694: D1000034 00C2612E
	v_cmp_u_f32_e64 s[48:49], v225, v225                       // 00000000869C: D0480030 0003C3E1
	v_add3_u32 v46, v225, v49, 1                               // 0000000086A4: D1FF002E 020663E1
	v_cndmask_b32_e64 v53, v46, v48, s[48:49]                  // 0000000086AC: D1000035 00C2612E
	v_perm_b32 v224, v53, v52, s52                             // 0000000086B4: D1ED00E0 00D26935
	v_cmp_u_f32_e64 s[48:49], v226, v226                       // 0000000086BC: D0480030 0003C5E2
	v_add3_u32 v46, v226, v49, 1                               // 0000000086C4: D1FF002E 020663E2
	v_cndmask_b32_e64 v52, v46, v48, s[48:49]                  // 0000000086CC: D1000034 00C2612E
	v_cmp_u_f32_e64 s[48:49], v227, v227                       // 0000000086D4: D0480030 0003C7E3
	v_add3_u32 v46, v227, v49, 1                               // 0000000086DC: D1FF002E 020663E3
	v_cndmask_b32_e64 v53, v46, v48, s[48:49]                  // 0000000086E4: D1000035 00C2612E
	v_perm_b32 v225, v53, v52, s52                             // 0000000086EC: D1ED00E1 00D26935
	v_cmp_u_f32_e64 s[48:49], v228, v228                       // 0000000086F4: D0480030 0003C9E4
	v_add3_u32 v46, v228, v49, 1                               // 0000000086FC: D1FF002E 020663E4
	v_cndmask_b32_e64 v52, v46, v48, s[48:49]                  // 000000008704: D1000034 00C2612E
	v_cmp_u_f32_e64 s[48:49], v229, v229                       // 00000000870C: D0480030 0003CBE5
	v_add3_u32 v46, v229, v49, 1                               // 000000008714: D1FF002E 020663E5
	v_cndmask_b32_e64 v53, v46, v48, s[48:49]                  // 00000000871C: D1000035 00C2612E
	v_perm_b32 v226, v53, v52, s52                             // 000000008724: D1ED00E2 00D26935
	v_cmp_u_f32_e64 s[48:49], v230, v230                       // 00000000872C: D0480030 0003CDE6
	v_add3_u32 v46, v230, v49, 1                               // 000000008734: D1FF002E 020663E6
	v_cndmask_b32_e64 v52, v46, v48, s[48:49]                  // 00000000873C: D1000034 00C2612E
	v_cmp_u_f32_e64 s[48:49], v231, v231                       // 000000008744: D0480030 0003CFE7
	v_add3_u32 v46, v231, v49, 1                               // 00000000874C: D1FF002E 020663E7
	v_cndmask_b32_e64 v53, v46, v48, s[48:49]                  // 000000008754: D1000035 00C2612E
	v_perm_b32 v227, v53, v52, s52                             // 00000000875C: D1ED00E3 00D26935
	v_cmp_u_f32_e64 s[48:49], v232, v232                       // 000000008764: D0480030 0003D1E8
	v_add3_u32 v46, v232, v49, 1                               // 00000000876C: D1FF002E 020663E8
	v_cndmask_b32_e64 v52, v46, v48, s[48:49]                  // 000000008774: D1000034 00C2612E
	v_cmp_u_f32_e64 s[48:49], v233, v233                       // 00000000877C: D0480030 0003D3E9
	v_add3_u32 v46, v233, v49, 1                               // 000000008784: D1FF002E 020663E9
	v_cndmask_b32_e64 v53, v46, v48, s[48:49]                  // 00000000878C: D1000035 00C2612E
	v_perm_b32 v228, v53, v52, s52                             // 000000008794: D1ED00E4 00D26935
	v_cmp_u_f32_e64 s[48:49], v234, v234                       // 00000000879C: D0480030 0003D5EA
	v_add3_u32 v46, v234, v49, 1                               // 0000000087A4: D1FF002E 020663EA
	v_cndmask_b32_e64 v52, v46, v48, s[48:49]                  // 0000000087AC: D1000034 00C2612E
	v_cmp_u_f32_e64 s[48:49], v235, v235                       // 0000000087B4: D0480030 0003D7EB
	v_add3_u32 v46, v235, v49, 1                               // 0000000087BC: D1FF002E 020663EB
	v_cndmask_b32_e64 v53, v46, v48, s[48:49]                  // 0000000087C4: D1000035 00C2612E
	v_perm_b32 v229, v53, v52, s52                             // 0000000087CC: D1ED00E5 00D26935
	v_cmp_u_f32_e64 s[48:49], v236, v236                       // 0000000087D4: D0480030 0003D9EC
	v_add3_u32 v46, v236, v49, 1                               // 0000000087DC: D1FF002E 020663EC
	v_cndmask_b32_e64 v52, v46, v48, s[48:49]                  // 0000000087E4: D1000034 00C2612E
	v_cmp_u_f32_e64 s[48:49], v237, v237                       // 0000000087EC: D0480030 0003DBED
	v_add3_u32 v46, v237, v49, 1                               // 0000000087F4: D1FF002E 020663ED
	v_cndmask_b32_e64 v53, v46, v48, s[48:49]                  // 0000000087FC: D1000035 00C2612E
	v_perm_b32 v230, v53, v52, s52                             // 000000008804: D1ED00E6 00D26935
	v_cmp_u_f32_e64 s[48:49], v238, v238                       // 00000000880C: D0480030 0003DDEE
	v_add3_u32 v46, v238, v49, 1                               // 000000008814: D1FF002E 020663EE
	v_cndmask_b32_e64 v52, v46, v48, s[48:49]                  // 00000000881C: D1000034 00C2612E
	v_cmp_u_f32_e64 s[48:49], v239, v239                       // 000000008824: D0480030 0003DFEF
	v_add3_u32 v46, v239, v49, 1                               // 00000000882C: D1FF002E 020663EF
	v_cndmask_b32_e64 v53, v46, v48, s[48:49]                  // 000000008834: D1000035 00C2612E
	v_perm_b32 v231, v53, v52, s52                             // 00000000883C: D1ED00E7 00D26935
	v_cmp_u_f32_e64 s[48:49], v240, v240                       // 000000008844: D0480030 0003E1F0
	v_add3_u32 v46, v240, v49, 1                               // 00000000884C: D1FF002E 020663F0
	v_cndmask_b32_e64 v52, v46, v48, s[48:49]                  // 000000008854: D1000034 00C2612E
	v_cmp_u_f32_e64 s[48:49], v241, v241                       // 00000000885C: D0480030 0003E3F1
	v_add3_u32 v46, v241, v49, 1                               // 000000008864: D1FF002E 020663F1
	v_cndmask_b32_e64 v53, v46, v48, s[48:49]                  // 00000000886C: D1000035 00C2612E
	v_perm_b32 v232, v53, v52, s52                             // 000000008874: D1ED00E8 00D26935
	v_cmp_u_f32_e64 s[48:49], v242, v242                       // 00000000887C: D0480030 0003E5F2
	v_add3_u32 v46, v242, v49, 1                               // 000000008884: D1FF002E 020663F2
	v_cndmask_b32_e64 v52, v46, v48, s[48:49]                  // 00000000888C: D1000034 00C2612E
	v_cmp_u_f32_e64 s[48:49], v243, v243                       // 000000008894: D0480030 0003E7F3
	v_add3_u32 v46, v243, v49, 1                               // 00000000889C: D1FF002E 020663F3
	v_cndmask_b32_e64 v53, v46, v48, s[48:49]                  // 0000000088A4: D1000035 00C2612E
	v_perm_b32 v233, v53, v52, s52                             // 0000000088AC: D1ED00E9 00D26935
	v_cmp_u_f32_e64 s[48:49], v244, v244                       // 0000000088B4: D0480030 0003E9F4
	v_add3_u32 v46, v244, v49, 1                               // 0000000088BC: D1FF002E 020663F4
	v_cndmask_b32_e64 v52, v46, v48, s[48:49]                  // 0000000088C4: D1000034 00C2612E
	v_cmp_u_f32_e64 s[48:49], v245, v245                       // 0000000088CC: D0480030 0003EBF5
	v_add3_u32 v46, v245, v49, 1                               // 0000000088D4: D1FF002E 020663F5
	v_cndmask_b32_e64 v53, v46, v48, s[48:49]                  // 0000000088DC: D1000035 00C2612E
	v_perm_b32 v234, v53, v52, s52                             // 0000000088E4: D1ED00EA 00D26935
	v_cmp_u_f32_e64 s[48:49], v246, v246                       // 0000000088EC: D0480030 0003EDF6
	v_add3_u32 v46, v246, v49, 1                               // 0000000088F4: D1FF002E 020663F6
	v_cndmask_b32_e64 v52, v46, v48, s[48:49]                  // 0000000088FC: D1000034 00C2612E
	v_cmp_u_f32_e64 s[48:49], v247, v247                       // 000000008904: D0480030 0003EFF7
	v_add3_u32 v46, v247, v49, 1                               // 00000000890C: D1FF002E 020663F7
	v_cndmask_b32_e64 v53, v46, v48, s[48:49]                  // 000000008914: D1000035 00C2612E
	v_perm_b32 v235, v53, v52, s52                             // 00000000891C: D1ED00EB 00D26935
	v_cmp_u_f32_e64 s[48:49], v248, v248                       // 000000008924: D0480030 0003F1F8
	v_add3_u32 v46, v248, v49, 1                               // 00000000892C: D1FF002E 020663F8
	v_cndmask_b32_e64 v52, v46, v48, s[48:49]                  // 000000008934: D1000034 00C2612E
	v_cmp_u_f32_e64 s[48:49], v249, v249                       // 00000000893C: D0480030 0003F3F9
	v_add3_u32 v46, v249, v49, 1                               // 000000008944: D1FF002E 020663F9
	v_cndmask_b32_e64 v53, v46, v48, s[48:49]                  // 00000000894C: D1000035 00C2612E
	v_perm_b32 v236, v53, v52, s52                             // 000000008954: D1ED00EC 00D26935
	v_cmp_u_f32_e64 s[48:49], v250, v250                       // 00000000895C: D0480030 0003F5FA
	v_add3_u32 v46, v250, v49, 1                               // 000000008964: D1FF002E 020663FA
	v_cndmask_b32_e64 v52, v46, v48, s[48:49]                  // 00000000896C: D1000034 00C2612E
	v_cmp_u_f32_e64 s[48:49], v251, v251                       // 000000008974: D0480030 0003F7FB
	v_add3_u32 v46, v251, v49, 1                               // 00000000897C: D1FF002E 020663FB
	v_cndmask_b32_e64 v53, v46, v48, s[48:49]                  // 000000008984: D1000035 00C2612E
	v_perm_b32 v237, v53, v52, s52                             // 00000000898C: D1ED00ED 00D26935
	v_cmp_u_f32_e64 s[48:49], v252, v252                       // 000000008994: D0480030 0003F9FC
	v_add3_u32 v46, v252, v49, 1                               // 00000000899C: D1FF002E 020663FC
	v_cndmask_b32_e64 v52, v46, v48, s[48:49]                  // 0000000089A4: D1000034 00C2612E
	v_cmp_u_f32_e64 s[48:49], v253, v253                       // 0000000089AC: D0480030 0003FBFD
	v_add3_u32 v46, v253, v49, 1                               // 0000000089B4: D1FF002E 020663FD
	v_cndmask_b32_e64 v53, v46, v48, s[48:49]                  // 0000000089BC: D1000035 00C2612E
	v_perm_b32 v238, v53, v52, s52                             // 0000000089C4: D1ED00EE 00D26935
	v_cmp_u_f32_e64 s[48:49], v254, v254                       // 0000000089CC: D0480030 0003FDFE
	v_add3_u32 v46, v254, v49, 1                               // 0000000089D4: D1FF002E 020663FE
	v_cndmask_b32_e64 v52, v46, v48, s[48:49]                  // 0000000089DC: D1000034 00C2612E
	v_cmp_u_f32_e64 s[48:49], v255, v255                       // 0000000089E4: D0480030 0003FFFF
	v_add3_u32 v46, v255, v49, 1                               // 0000000089EC: D1FF002E 020663FF
	v_cndmask_b32_e64 v53, v46, v48, s[48:49]                  // 0000000089F4: D1000035 00C2612E
	v_perm_b32 v239, v53, v52, s52                             // 0000000089FC: D1ED00EF 00D26935
	ds_write_b64 v3, v[224:225] offset:35072                   // 000000008A04: D89A8900 0000E003
	ds_write_b64 v3, v[226:227] offset:43776                   // 000000008A0C: D89AAB00 0000E203
	ds_write_b64 v3, v[228:229] offset:37248                   // 000000008A14: D89A9180 0000E403
	ds_write_b64 v3, v[230:231] offset:45952                   // 000000008A1C: D89AB380 0000E603
	ds_write_b64 v3, v[232:233] offset:39424                   // 000000008A24: D89A9A00 0000E803
	ds_write_b64 v3, v[234:235] offset:48128                   // 000000008A2C: D89ABC00 0000EA03
	ds_write_b64 v3, v[236:237] offset:41600                   // 000000008A34: D89AA280 0000EC03
	ds_write_b64 v3, v[238:239] offset:50304                   // 000000008A3C: D89AC480 0000EE03
	s_waitcnt lgkmcnt(0)                                       // 000000008A44: BF8CC07F
	s_barrier                                                  // 000000008A48: BF8A0000
	ds_read_b32 v64, v4 offset:35072                           // 000000008A4C: D86C8900 40000004
	ds_read_b32 v65, v4 offset:39424                           // 000000008A54: D86C9A00 41000004
	ds_read_b32 v66, v4 offset:35104                           // 000000008A5C: D86C8920 42000004
	ds_read_b32 v67, v4 offset:39456                           // 000000008A64: D86C9A20 43000004
	ds_read_b32 v68, v4 offset:35136                           // 000000008A6C: D86C8940 44000004
	ds_read_b32 v69, v4 offset:39488                           // 000000008A74: D86C9A40 45000004
	ds_read_b32 v70, v4 offset:35168                           // 000000008A7C: D86C8960 46000004
	ds_read_b32 v71, v4 offset:39520                           // 000000008A84: D86C9A60 47000004
	ds_read_b32 v72, v4 offset:43776                           // 000000008A8C: D86CAB00 48000004
	ds_read_b32 v73, v4 offset:48128                           // 000000008A94: D86CBC00 49000004
	ds_read_b32 v74, v4 offset:43808                           // 000000008A9C: D86CAB20 4A000004
	ds_read_b32 v75, v4 offset:48160                           // 000000008AA4: D86CBC20 4B000004
	ds_read_b32 v76, v4 offset:43840                           // 000000008AAC: D86CAB40 4C000004
	ds_read_b32 v77, v4 offset:48192                           // 000000008AB4: D86CBC40 4D000004
	ds_read_b32 v78, v4 offset:43872                           // 000000008ABC: D86CAB60 4E000004
	ds_read_b32 v79, v4 offset:48224                           // 000000008AC4: D86CBC60 4F000004
	s_waitcnt lgkmcnt(0)                                       // 000000008ACC: BF8CC07F
	s_mov_b64 exec, s[20:21]                                   // 000000008AD0: BEFE0114
	global_atomic_pk_add_bf16 v80, v64, s[8:9]                 // 000000008AD4: DD488000 00084050
	s_mov_b64 exec, s[36:37]                                   // 000000008ADC: BEFE0124
	s_mov_b64 exec, s[20:21]                                   // 000000008AE0: BEFE0114
	global_atomic_pk_add_bf16 v80, v65, s[8:9] offset:256      // 000000008AE4: DD488100 00084150
	s_mov_b64 exec, s[36:37]                                   // 000000008AEC: BEFE0124
	s_mov_b64 exec, s[22:23]                                   // 000000008AF0: BEFE0116
	global_atomic_pk_add_bf16 v82, v66, s[8:9]                 // 000000008AF4: DD488000 00084252
	s_mov_b64 exec, s[36:37]                                   // 000000008AFC: BEFE0124
	s_mov_b64 exec, s[22:23]                                   // 000000008B00: BEFE0116
	global_atomic_pk_add_bf16 v82, v67, s[8:9] offset:256      // 000000008B04: DD488100 00084352
	s_mov_b64 exec, s[36:37]                                   // 000000008B0C: BEFE0124
	s_mov_b64 exec, s[24:25]                                   // 000000008B10: BEFE0118
	global_atomic_pk_add_bf16 v84, v68, s[8:9]                 // 000000008B14: DD488000 00084454
	s_mov_b64 exec, s[36:37]                                   // 000000008B1C: BEFE0124
	s_mov_b64 exec, s[24:25]                                   // 000000008B20: BEFE0118
	global_atomic_pk_add_bf16 v84, v69, s[8:9] offset:256      // 000000008B24: DD488100 00084554
	s_mov_b64 exec, s[36:37]                                   // 000000008B2C: BEFE0124
	s_mov_b64 exec, s[26:27]                                   // 000000008B30: BEFE011A
	global_atomic_pk_add_bf16 v86, v70, s[8:9]                 // 000000008B34: DD488000 00084656
	s_mov_b64 exec, s[36:37]                                   // 000000008B3C: BEFE0124
	s_mov_b64 exec, s[26:27]                                   // 000000008B40: BEFE011A
	global_atomic_pk_add_bf16 v86, v71, s[8:9] offset:256      // 000000008B44: DD488100 00084756
	s_mov_b64 exec, s[36:37]                                   // 000000008B4C: BEFE0124
	s_mov_b64 exec, s[28:29]                                   // 000000008B50: BEFE011C
	global_atomic_pk_add_bf16 v88, v72, s[8:9]                 // 000000008B54: DD488000 00084858
	s_mov_b64 exec, s[36:37]                                   // 000000008B5C: BEFE0124
	s_mov_b64 exec, s[28:29]                                   // 000000008B60: BEFE011C
	global_atomic_pk_add_bf16 v88, v73, s[8:9] offset:256      // 000000008B64: DD488100 00084958
	s_mov_b64 exec, s[36:37]                                   // 000000008B6C: BEFE0124
	s_mov_b64 exec, s[30:31]                                   // 000000008B70: BEFE011E
	global_atomic_pk_add_bf16 v90, v74, s[8:9]                 // 000000008B74: DD488000 00084A5A
	s_mov_b64 exec, s[36:37]                                   // 000000008B7C: BEFE0124
	s_mov_b64 exec, s[30:31]                                   // 000000008B80: BEFE011E
	global_atomic_pk_add_bf16 v90, v75, s[8:9] offset:256      // 000000008B84: DD488100 00084B5A
	s_mov_b64 exec, s[36:37]                                   // 000000008B8C: BEFE0124
	s_mov_b64 exec, s[32:33]                                   // 000000008B90: BEFE0120
	global_atomic_pk_add_bf16 v92, v76, s[8:9]                 // 000000008B94: DD488000 00084C5C
	s_mov_b64 exec, s[36:37]                                   // 000000008B9C: BEFE0124
	s_mov_b64 exec, s[32:33]                                   // 000000008BA0: BEFE0120
	global_atomic_pk_add_bf16 v92, v77, s[8:9] offset:256      // 000000008BA4: DD488100 00084D5C
	s_mov_b64 exec, s[36:37]                                   // 000000008BAC: BEFE0124
	s_mov_b64 exec, s[34:35]                                   // 000000008BB0: BEFE0122
	global_atomic_pk_add_bf16 v94, v78, s[8:9]                 // 000000008BB4: DD488000 00084E5E
	s_mov_b64 exec, s[36:37]                                   // 000000008BBC: BEFE0124
	s_mov_b64 exec, s[34:35]                                   // 000000008BC0: BEFE0122
	global_atomic_pk_add_bf16 v94, v79, s[8:9] offset:256      // 000000008BC4: DD488100 00084F5E
	s_mov_b64 exec, s[36:37]                                   // 000000008BCC: BEFE0124
	s_add_u32 s8, s59, s8                                      // 000000008BD0: 8008083B
	s_addc_u32 s9, 0, s9                                       // 000000008BD4: 82090980
	s_addk_i32 s80, 0x100                                      // 000000008BD8: B7500100
	s_cmp_lt_i32 s80, s81                                      // 000000008BDC: BF045150
	s_cbranch_scc0 label_177A                                  // 000000008BE0: BF840001
	s_branch label_10C3                                        // 000000008BE4: BF82F949

0000000000008be8 <label_177A>:
	s_nop 0                                                    // 000000008BE8: BF800000
	s_nop 0                                                    // 000000008BEC: BF800000
	s_branch label_2BD3                                        // 000000008BF0: BF821456

0000000000008bf4 <label_177D>:
	s_waitcnt vmcnt(24) lgkmcnt(0)                             // 000000008BF4: BF8C4078
	s_barrier                                                  // 000000008BF8: BF8A0000
	v_mfma_i32_16x16x32_i8 v[128:131], a[0:1], v[192:193], v[128:131]// 000000008BFC: D3D70080 0E038100
	buffer_load_dwordx4 a[128:131], v34, s[92:95], 0 offen     // 000000008C04: E05C1000 80978022
	v_mfma_i32_16x16x32_i8 v[128:131], a[2:3], v[194:195], v[128:131]// 000000008C0C: D3D70080 0E038502
	v_mfma_i32_16x16x32_i8 v[128:131], a[4:5], v[196:197], v[128:131]// 000000008C14: D3D70080 0E038904
	buffer_load_dword v26, s[20:23], 0 offen lds               // 000000008C1C: E0511000 8005001A
	s_add_u32 m0, 0x100, s51                                   // 000000008C24: 807C33FF 00000100
	v_mfma_i32_16x16x32_i8 v[128:131], a[6:7], v[198:199], v[128:131]// 000000008C2C: D3D70080 0E038D06
	v_mfma_i32_16x16x32_i8 v[128:131], a[8:9], v[200:201], v[128:131]// 000000008C34: D3D70080 0E039108
	buffer_load_dwordx4 a[132:135], v34, s[92:95], 0 offen offset:1024// 000000008C3C: E05C1400 80978422
	v_mfma_i32_16x16x32_i8 v[128:131], a[10:11], v[202:203], v[128:131]// 000000008C44: D3D70080 0E03950A
	v_mfma_i32_16x16x32_i8 v[128:131], a[12:13], v[204:205], v[128:131]// 000000008C4C: D3D70080 0E03990C
	buffer_load_dword v27, s[20:23], 0 offen lds               // 000000008C54: E0511000 8005001B
	s_add_u32 m0, 0x200, s51                                   // 000000008C5C: 807C33FF 00000200
	v_mfma_i32_16x16x32_i8 v[128:131], a[14:15], v[206:207], v[128:131]// 000000008C64: D3D70080 0E039D0E
	v_mfma_i32_16x16x32_i8 v[132:135], a[0:1], v[208:209], v[132:135]// 000000008C6C: D3D70084 0E13A100
	buffer_load_dwordx4 a[136:139], v34, s[92:95], 0 offen offset:2048// 000000008C74: E05C1800 80978822
	v_mfma_i32_16x16x32_i8 v[132:135], a[2:3], v[210:211], v[132:135]// 000000008C7C: D3D70084 0E13A502
	v_mfma_i32_16x16x32_i8 v[132:135], a[4:5], v[212:213], v[132:135]// 000000008C84: D3D70084 0E13A904
	buffer_load_dword v28, s[20:23], 0 offen lds               // 000000008C8C: E0511000 8005001C
	s_add_u32 m0, 0x300, s51                                   // 000000008C94: 807C33FF 00000300
	v_mfma_i32_16x16x32_i8 v[132:135], a[6:7], v[214:215], v[132:135]// 000000008C9C: D3D70084 0E13AD06
	v_mfma_i32_16x16x32_i8 v[132:135], a[8:9], v[216:217], v[132:135]// 000000008CA4: D3D70084 0E13B108
	buffer_load_dwordx4 a[140:143], v34, s[92:95], 0 offen offset:3072// 000000008CAC: E05C1C00 80978C22
	v_mfma_i32_16x16x32_i8 v[132:135], a[10:11], v[218:219], v[132:135]// 000000008CB4: D3D70084 0E13B50A
	v_mfma_i32_16x16x32_i8 v[132:135], a[12:13], v[220:221], v[132:135]// 000000008CBC: D3D70084 0E13B90C
	buffer_load_dword v29, s[20:23], 0 offen lds               // 000000008CC4: E0511000 8005001D
	s_add_u32 m0, 0x400, s51                                   // 000000008CCC: 807C33FF 00000400
	v_mfma_i32_16x16x32_i8 v[132:135], a[14:15], v[222:223], v[132:135]// 000000008CD4: D3D70084 0E13BD0E
	v_mfma_i32_16x16x32_i8 v[136:139], a[16:17], v[192:193], v[136:139]// 000000008CDC: D3D70088 0E238110
	buffer_load_dwordx4 a[144:147], v35, s[92:95], 0 offen     // 000000008CE4: E05C1000 80979023
	v_mfma_i32_16x16x32_i8 v[136:139], a[18:19], v[194:195], v[136:139]// 000000008CEC: D3D70088 0E238512
	v_mfma_i32_16x16x32_i8 v[136:139], a[20:21], v[196:197], v[136:139]// 000000008CF4: D3D70088 0E238914
	buffer_load_dword v30, s[20:23], 0 offen lds               // 000000008CFC: E0511000 8005001E
	s_add_u32 m0, 0x500, s51                                   // 000000008D04: 807C33FF 00000500
	v_mfma_i32_16x16x32_i8 v[136:139], a[22:23], v[198:199], v[136:139]// 000000008D0C: D3D70088 0E238D16
	v_mfma_i32_16x16x32_i8 v[136:139], a[24:25], v[200:201], v[136:139]// 000000008D14: D3D70088 0E239118
	buffer_load_dwordx4 a[148:151], v35, s[92:95], 0 offen offset:1024// 000000008D1C: E05C1400 80979423
	v_mfma_i32_16x16x32_i8 v[136:139], a[26:27], v[202:203], v[136:139]// 000000008D24: D3D70088 0E23951A
	v_mfma_i32_16x16x32_i8 v[136:139], a[28:29], v[204:205], v[136:139]// 000000008D2C: D3D70088 0E23991C
	buffer_load_dword v31, s[20:23], 0 offen lds               // 000000008D34: E0511000 8005001F
	s_add_u32 m0, 0x600, s51                                   // 000000008D3C: 807C33FF 00000600
	v_mfma_i32_16x16x32_i8 v[136:139], a[30:31], v[206:207], v[136:139]// 000000008D44: D3D70088 0E239D1E
	v_mfma_i32_16x16x32_i8 v[140:143], a[16:17], v[208:209], v[140:143]// 000000008D4C: D3D7008C 0E33A110
	buffer_load_dwordx4 a[152:155], v35, s[92:95], 0 offen offset:2048// 000000008D54: E05C1800 80979823
	v_mfma_i32_16x16x32_i8 v[140:143], a[18:19], v[210:211], v[140:143]// 000000008D5C: D3D7008C 0E33A512
	v_mfma_i32_16x16x32_i8 v[140:143], a[20:21], v[212:213], v[140:143]// 000000008D64: D3D7008C 0E33A914
	buffer_load_dword v32, s[20:23], 0 offen lds               // 000000008D6C: E0511000 80050020
	s_add_u32 m0, 0x700, s51                                   // 000000008D74: 807C33FF 00000700
	v_mfma_i32_16x16x32_i8 v[140:143], a[22:23], v[214:215], v[140:143]// 000000008D7C: D3D7008C 0E33AD16
	v_mfma_i32_16x16x32_i8 v[140:143], a[24:25], v[216:217], v[140:143]// 000000008D84: D3D7008C 0E33B118
	buffer_load_dwordx4 a[156:159], v35, s[92:95], 0 offen offset:3072// 000000008D8C: E05C1C00 80979C23
	v_mfma_i32_16x16x32_i8 v[140:143], a[26:27], v[218:219], v[140:143]// 000000008D94: D3D7008C 0E33B51A
	v_mfma_i32_16x16x32_i8 v[140:143], a[28:29], v[220:221], v[140:143]// 000000008D9C: D3D7008C 0E33B91C
	buffer_load_dword v33, s[20:23], 0 offen lds               // 000000008DA4: E0511000 80050021
	s_add_u32 m0, 0, s50                                       // 000000008DAC: 807C3280
	v_mfma_i32_16x16x32_i8 v[140:143], a[30:31], v[222:223], v[140:143]// 000000008DB0: D3D7008C 0E33BD1E
	s_waitcnt vmcnt(36)                                        // 000000008DB8: BF8C8F74
	v_mfma_i32_16x16x32_i8 v[144:147], a[32:33], v[192:193], v[144:147]// 000000008DBC: D3D70090 0E438120
	buffer_load_dwordx4 a[160:163], v36, s[92:95], 0 offen     // 000000008DC4: E05C1000 8097A024
	v_mfma_i32_16x16x32_i8 v[144:147], a[34:35], v[194:195], v[144:147]// 000000008DCC: D3D70090 0E438522
	v_mfma_i32_16x16x32_i8 v[144:147], a[36:37], v[196:197], v[144:147]// 000000008DD4: D3D70090 0E438924
	v_mfma_i32_16x16x32_i8 v[144:147], a[38:39], v[198:199], v[144:147]// 000000008DDC: D3D70090 0E438D26
	v_mfma_i32_16x16x32_i8 v[144:147], a[40:41], v[200:201], v[144:147]// 000000008DE4: D3D70090 0E439128
	buffer_load_dwordx4 a[164:167], v36, s[92:95], 0 offen offset:1024// 000000008DEC: E05C1400 8097A424
	v_mfma_i32_16x16x32_i8 v[144:147], a[42:43], v[202:203], v[144:147]// 000000008DF4: D3D70090 0E43952A
	v_mfma_i32_16x16x32_i8 v[144:147], a[44:45], v[204:205], v[144:147]// 000000008DFC: D3D70090 0E43992C
	v_mfma_i32_16x16x32_i8 v[144:147], a[46:47], v[206:207], v[144:147]// 000000008E04: D3D70090 0E439D2E
	v_mfma_i32_16x16x32_i8 v[148:151], a[32:33], v[208:209], v[148:151]// 000000008E0C: D3D70094 0E53A120
	buffer_load_dwordx4 a[168:171], v36, s[92:95], 0 offen offset:2048// 000000008E14: E05C1800 8097A824
	v_mfma_i32_16x16x32_i8 v[148:151], a[34:35], v[210:211], v[148:151]// 000000008E1C: D3D70094 0E53A522
	v_mfma_i32_16x16x32_i8 v[148:151], a[36:37], v[212:213], v[148:151]// 000000008E24: D3D70094 0E53A924
	v_mfma_i32_16x16x32_i8 v[148:151], a[38:39], v[214:215], v[148:151]// 000000008E2C: D3D70094 0E53AD26
	v_mfma_i32_16x16x32_i8 v[148:151], a[40:41], v[216:217], v[148:151]// 000000008E34: D3D70094 0E53B128
	buffer_load_dwordx4 a[172:175], v36, s[92:95], 0 offen offset:3072// 000000008E3C: E05C1C00 8097AC24
	v_mfma_i32_16x16x32_i8 v[148:151], a[42:43], v[218:219], v[148:151]// 000000008E44: D3D70094 0E53B52A
	v_mfma_i32_16x16x32_i8 v[148:151], a[44:45], v[220:221], v[148:151]// 000000008E4C: D3D70094 0E53B92C
	v_mfma_i32_16x16x32_i8 v[148:151], a[46:47], v[222:223], v[148:151]// 000000008E54: D3D70094 0E53BD2E
	s_waitcnt vmcnt(36)                                        // 000000008E5C: BF8C8F74
	v_mfma_i32_16x16x32_i8 v[152:155], a[48:49], v[192:193], v[152:155]// 000000008E60: D3D70098 0E638130
	buffer_load_dwordx4 a[176:179], v37, s[92:95], 0 offen     // 000000008E68: E05C1000 8097B025
	v_mfma_i32_16x16x32_i8 v[152:155], a[50:51], v[194:195], v[152:155]// 000000008E70: D3D70098 0E638532
	v_mfma_i32_16x16x32_i8 v[152:155], a[52:53], v[196:197], v[152:155]// 000000008E78: D3D70098 0E638934
	v_mfma_i32_16x16x32_i8 v[152:155], a[54:55], v[198:199], v[152:155]// 000000008E80: D3D70098 0E638D36
	v_mfma_i32_16x16x32_i8 v[152:155], a[56:57], v[200:201], v[152:155]// 000000008E88: D3D70098 0E639138
	buffer_load_dwordx4 a[180:183], v37, s[92:95], 0 offen offset:1024// 000000008E90: E05C1400 8097B425
	v_mfma_i32_16x16x32_i8 v[152:155], a[58:59], v[202:203], v[152:155]// 000000008E98: D3D70098 0E63953A
	v_mfma_i32_16x16x32_i8 v[152:155], a[60:61], v[204:205], v[152:155]// 000000008EA0: D3D70098 0E63993C
	v_mfma_i32_16x16x32_i8 v[152:155], a[62:63], v[206:207], v[152:155]// 000000008EA8: D3D70098 0E639D3E
	v_mfma_i32_16x16x32_i8 v[156:159], a[48:49], v[208:209], v[156:159]// 000000008EB0: D3D7009C 0E73A130
	buffer_load_dwordx4 a[184:187], v37, s[92:95], 0 offen offset:2048// 000000008EB8: E05C1800 8097B825
	v_mfma_i32_16x16x32_i8 v[156:159], a[50:51], v[210:211], v[156:159]// 000000008EC0: D3D7009C 0E73A532
	v_mfma_i32_16x16x32_i8 v[156:159], a[52:53], v[212:213], v[156:159]// 000000008EC8: D3D7009C 0E73A934
	v_mfma_i32_16x16x32_i8 v[156:159], a[54:55], v[214:215], v[156:159]// 000000008ED0: D3D7009C 0E73AD36
	v_mfma_i32_16x16x32_i8 v[156:159], a[56:57], v[216:217], v[156:159]// 000000008ED8: D3D7009C 0E73B138
	buffer_load_dwordx4 a[188:191], v37, s[92:95], 0 offen offset:3072// 000000008EE0: E05C1C00 8097BC25
	v_mfma_i32_16x16x32_i8 v[156:159], a[58:59], v[218:219], v[156:159]// 000000008EE8: D3D7009C 0E73B53A
	v_mfma_i32_16x16x32_i8 v[156:159], a[60:61], v[220:221], v[156:159]// 000000008EF0: D3D7009C 0E73B93C
	v_mfma_i32_16x16x32_i8 v[156:159], a[62:63], v[222:223], v[156:159]// 000000008EF8: D3D7009C 0E73BD3E
	s_waitcnt vmcnt(36)                                        // 000000008F00: BF8C8F74
	v_mfma_i32_16x16x32_i8 v[160:163], a[64:65], v[192:193], v[160:163]// 000000008F04: D3D700A0 0E838140
	buffer_load_dwordx4 a[192:195], v38, s[92:95], 0 offen     // 000000008F0C: E05C1000 8097C026
	v_mfma_i32_16x16x32_i8 v[160:163], a[66:67], v[194:195], v[160:163]// 000000008F14: D3D700A0 0E838542
	v_mfma_i32_16x16x32_i8 v[160:163], a[68:69], v[196:197], v[160:163]// 000000008F1C: D3D700A0 0E838944
	v_mfma_i32_16x16x32_i8 v[160:163], a[70:71], v[198:199], v[160:163]// 000000008F24: D3D700A0 0E838D46
	v_mfma_i32_16x16x32_i8 v[160:163], a[72:73], v[200:201], v[160:163]// 000000008F2C: D3D700A0 0E839148
	buffer_load_dwordx4 a[196:199], v38, s[92:95], 0 offen offset:1024// 000000008F34: E05C1400 8097C426
	v_mfma_i32_16x16x32_i8 v[160:163], a[74:75], v[202:203], v[160:163]// 000000008F3C: D3D700A0 0E83954A
	v_mfma_i32_16x16x32_i8 v[160:163], a[76:77], v[204:205], v[160:163]// 000000008F44: D3D700A0 0E83994C
	v_mfma_i32_16x16x32_i8 v[160:163], a[78:79], v[206:207], v[160:163]// 000000008F4C: D3D700A0 0E839D4E
	v_mfma_i32_16x16x32_i8 v[164:167], a[64:65], v[208:209], v[164:167]// 000000008F54: D3D700A4 0E93A140
	buffer_load_dwordx4 a[200:203], v38, s[92:95], 0 offen offset:2048// 000000008F5C: E05C1800 8097C826
	v_mfma_i32_16x16x32_i8 v[164:167], a[66:67], v[210:211], v[164:167]// 000000008F64: D3D700A4 0E93A542
	v_mfma_i32_16x16x32_i8 v[164:167], a[68:69], v[212:213], v[164:167]// 000000008F6C: D3D700A4 0E93A944
	v_mfma_i32_16x16x32_i8 v[164:167], a[70:71], v[214:215], v[164:167]// 000000008F74: D3D700A4 0E93AD46
	v_mfma_i32_16x16x32_i8 v[164:167], a[72:73], v[216:217], v[164:167]// 000000008F7C: D3D700A4 0E93B148
	buffer_load_dwordx4 a[204:207], v38, s[92:95], 0 offen offset:3072// 000000008F84: E05C1C00 8097CC26
	v_mfma_i32_16x16x32_i8 v[164:167], a[74:75], v[218:219], v[164:167]// 000000008F8C: D3D700A4 0E93B54A
	v_mfma_i32_16x16x32_i8 v[164:167], a[76:77], v[220:221], v[164:167]// 000000008F94: D3D700A4 0E93B94C
	v_mfma_i32_16x16x32_i8 v[164:167], a[78:79], v[222:223], v[164:167]// 000000008F9C: D3D700A4 0E93BD4E
	s_waitcnt vmcnt(36)                                        // 000000008FA4: BF8C8F74
	v_mfma_i32_16x16x32_i8 v[168:171], a[80:81], v[192:193], v[168:171]// 000000008FA8: D3D700A8 0EA38150
	buffer_load_dwordx4 a[208:211], v39, s[92:95], 0 offen     // 000000008FB0: E05C1000 8097D027
	v_mfma_i32_16x16x32_i8 v[168:171], a[82:83], v[194:195], v[168:171]// 000000008FB8: D3D700A8 0EA38552
	v_mfma_i32_16x16x32_i8 v[168:171], a[84:85], v[196:197], v[168:171]// 000000008FC0: D3D700A8 0EA38954
	v_mfma_i32_16x16x32_i8 v[168:171], a[86:87], v[198:199], v[168:171]// 000000008FC8: D3D700A8 0EA38D56
	v_mfma_i32_16x16x32_i8 v[168:171], a[88:89], v[200:201], v[168:171]// 000000008FD0: D3D700A8 0EA39158
	buffer_load_dwordx4 a[212:215], v39, s[92:95], 0 offen offset:1024// 000000008FD8: E05C1400 8097D427
	v_mfma_i32_16x16x32_i8 v[168:171], a[90:91], v[202:203], v[168:171]// 000000008FE0: D3D700A8 0EA3955A
	v_mfma_i32_16x16x32_i8 v[168:171], a[92:93], v[204:205], v[168:171]// 000000008FE8: D3D700A8 0EA3995C
	v_mfma_i32_16x16x32_i8 v[168:171], a[94:95], v[206:207], v[168:171]// 000000008FF0: D3D700A8 0EA39D5E
	v_mfma_i32_16x16x32_i8 v[172:175], a[80:81], v[208:209], v[172:175]// 000000008FF8: D3D700AC 0EB3A150
	buffer_load_dwordx4 a[216:219], v39, s[92:95], 0 offen offset:2048// 000000009000: E05C1800 8097D827
	v_mfma_i32_16x16x32_i8 v[172:175], a[82:83], v[210:211], v[172:175]// 000000009008: D3D700AC 0EB3A552
	v_mfma_i32_16x16x32_i8 v[172:175], a[84:85], v[212:213], v[172:175]// 000000009010: D3D700AC 0EB3A954
	v_mfma_i32_16x16x32_i8 v[172:175], a[86:87], v[214:215], v[172:175]// 000000009018: D3D700AC 0EB3AD56
	v_mfma_i32_16x16x32_i8 v[172:175], a[88:89], v[216:217], v[172:175]// 000000009020: D3D700AC 0EB3B158
	buffer_load_dwordx4 a[220:223], v39, s[92:95], 0 offen offset:3072// 000000009028: E05C1C00 8097DC27
	v_mfma_i32_16x16x32_i8 v[172:175], a[90:91], v[218:219], v[172:175]// 000000009030: D3D700AC 0EB3B55A
	v_mfma_i32_16x16x32_i8 v[172:175], a[92:93], v[220:221], v[172:175]// 000000009038: D3D700AC 0EB3B95C
	v_mfma_i32_16x16x32_i8 v[172:175], a[94:95], v[222:223], v[172:175]// 000000009040: D3D700AC 0EB3BD5E
	s_waitcnt vmcnt(36)                                        // 000000009048: BF8C8F74
	v_mfma_i32_16x16x32_i8 v[176:179], a[96:97], v[192:193], v[176:179]// 00000000904C: D3D700B0 0EC38160
	buffer_load_dwordx4 a[224:227], v40, s[92:95], 0 offen     // 000000009054: E05C1000 8097E028
	v_mfma_i32_16x16x32_i8 v[176:179], a[98:99], v[194:195], v[176:179]// 00000000905C: D3D700B0 0EC38562
	v_mfma_i32_16x16x32_i8 v[176:179], a[100:101], v[196:197], v[176:179]// 000000009064: D3D700B0 0EC38964
	v_mfma_i32_16x16x32_i8 v[176:179], a[102:103], v[198:199], v[176:179]// 00000000906C: D3D700B0 0EC38D66
	v_mfma_i32_16x16x32_i8 v[176:179], a[104:105], v[200:201], v[176:179]// 000000009074: D3D700B0 0EC39168
	buffer_load_dwordx4 a[228:231], v40, s[92:95], 0 offen offset:1024// 00000000907C: E05C1400 8097E428
	v_mfma_i32_16x16x32_i8 v[176:179], a[106:107], v[202:203], v[176:179]// 000000009084: D3D700B0 0EC3956A
	v_mfma_i32_16x16x32_i8 v[176:179], a[108:109], v[204:205], v[176:179]// 00000000908C: D3D700B0 0EC3996C
	v_mfma_i32_16x16x32_i8 v[176:179], a[110:111], v[206:207], v[176:179]// 000000009094: D3D700B0 0EC39D6E
	v_mfma_i32_16x16x32_i8 v[180:183], a[96:97], v[208:209], v[180:183]// 00000000909C: D3D700B4 0ED3A160
	buffer_load_dwordx4 a[232:235], v40, s[92:95], 0 offen offset:2048// 0000000090A4: E05C1800 8097E828
	v_mfma_i32_16x16x32_i8 v[180:183], a[98:99], v[210:211], v[180:183]// 0000000090AC: D3D700B4 0ED3A562
	v_mfma_i32_16x16x32_i8 v[180:183], a[100:101], v[212:213], v[180:183]// 0000000090B4: D3D700B4 0ED3A964
	v_mfma_i32_16x16x32_i8 v[180:183], a[102:103], v[214:215], v[180:183]// 0000000090BC: D3D700B4 0ED3AD66
	v_mfma_i32_16x16x32_i8 v[180:183], a[104:105], v[216:217], v[180:183]// 0000000090C4: D3D700B4 0ED3B168
	buffer_load_dwordx4 a[236:239], v40, s[92:95], 0 offen offset:3072// 0000000090CC: E05C1C00 8097EC28
	v_mfma_i32_16x16x32_i8 v[180:183], a[106:107], v[218:219], v[180:183]// 0000000090D4: D3D700B4 0ED3B56A
	v_mfma_i32_16x16x32_i8 v[180:183], a[108:109], v[220:221], v[180:183]// 0000000090DC: D3D700B4 0ED3B96C
	v_mfma_i32_16x16x32_i8 v[180:183], a[110:111], v[222:223], v[180:183]// 0000000090E4: D3D700B4 0ED3BD6E
	s_waitcnt vmcnt(36)                                        // 0000000090EC: BF8C8F74
	v_mfma_i32_16x16x32_i8 v[184:187], a[112:113], v[192:193], v[184:187]// 0000000090F0: D3D700B8 0EE38170
	buffer_load_dwordx4 a[240:243], v41, s[92:95], 0 offen     // 0000000090F8: E05C1000 8097F029
	v_mfma_i32_16x16x32_i8 v[184:187], a[114:115], v[194:195], v[184:187]// 000000009100: D3D700B8 0EE38572
	v_mfma_i32_16x16x32_i8 v[184:187], a[116:117], v[196:197], v[184:187]// 000000009108: D3D700B8 0EE38974
	v_mfma_i32_16x16x32_i8 v[184:187], a[118:119], v[198:199], v[184:187]// 000000009110: D3D700B8 0EE38D76
	v_mfma_i32_16x16x32_i8 v[184:187], a[120:121], v[200:201], v[184:187]// 000000009118: D3D700B8 0EE39178
	buffer_load_dwordx4 a[244:247], v41, s[92:95], 0 offen offset:1024// 000000009120: E05C1400 8097F429
	v_mfma_i32_16x16x32_i8 v[184:187], a[122:123], v[202:203], v[184:187]// 000000009128: D3D700B8 0EE3957A
	v_mfma_i32_16x16x32_i8 v[184:187], a[124:125], v[204:205], v[184:187]// 000000009130: D3D700B8 0EE3997C
	v_mfma_i32_16x16x32_i8 v[184:187], a[126:127], v[206:207], v[184:187]// 000000009138: D3D700B8 0EE39D7E
	v_mfma_i32_16x16x32_i8 v[188:191], a[112:113], v[208:209], v[188:191]// 000000009140: D3D700BC 0EF3A170
	buffer_load_dwordx4 a[248:251], v41, s[92:95], 0 offen offset:2048// 000000009148: E05C1800 8097F829
	v_mfma_i32_16x16x32_i8 v[188:191], a[114:115], v[210:211], v[188:191]// 000000009150: D3D700BC 0EF3A572
	v_mfma_i32_16x16x32_i8 v[188:191], a[116:117], v[212:213], v[188:191]// 000000009158: D3D700BC 0EF3A974
	v_mfma_i32_16x16x32_i8 v[188:191], a[118:119], v[214:215], v[188:191]// 000000009160: D3D700BC 0EF3AD76
	v_mfma_i32_16x16x32_i8 v[188:191], a[120:121], v[216:217], v[188:191]// 000000009168: D3D700BC 0EF3B178
	buffer_load_dwordx4 a[252:255], v41, s[92:95], 0 offen offset:3072// 000000009170: E05C1C00 8097FC29
	v_mfma_i32_16x16x32_i8 v[188:191], a[122:123], v[218:219], v[188:191]// 000000009178: D3D700BC 0EF3B57A
	v_mfma_i32_16x16x32_i8 v[188:191], a[124:125], v[220:221], v[188:191]// 000000009180: D3D700BC 0EF3B97C
	v_mfma_i32_16x16x32_i8 v[188:191], a[126:127], v[222:223], v[188:191]// 000000009188: D3D700BC 0EF3BD7E
	s_waitcnt vmcnt(24)                                        // 000000009190: BF8C4F78
	s_barrier                                                  // 000000009194: BF8A0000
	v_mfma_i32_16x16x32_i8 v[64:67], a[128:129], v[192:193], v[64:67]// 000000009198: D3D70040 0D038180
	buffer_load_dwordx4 a[0:3], v34, s[24:27], 0 offen         // 0000000091A0: E05C1000 80860022
	v_mfma_i32_16x16x32_i8 v[64:67], a[130:131], v[194:195], v[64:67]// 0000000091A8: D3D70040 0D038582
	v_mfma_i32_16x16x32_i8 v[64:67], a[132:133], v[196:197], v[64:67]// 0000000091B0: D3D70040 0D038984
	v_mfma_i32_16x16x32_i8 v[64:67], a[134:135], v[198:199], v[64:67]// 0000000091B8: D3D70040 0D038D86
	v_mfma_i32_16x16x32_i8 v[64:67], a[136:137], v[200:201], v[64:67]// 0000000091C0: D3D70040 0D039188
	buffer_load_dwordx4 a[4:7], v34, s[24:27], 0 offen offset:1024// 0000000091C8: E05C1400 80860422
	v_mfma_i32_16x16x32_i8 v[64:67], a[138:139], v[202:203], v[64:67]// 0000000091D0: D3D70040 0D03958A
	v_mfma_i32_16x16x32_i8 v[64:67], a[140:141], v[204:205], v[64:67]// 0000000091D8: D3D70040 0D03998C
	v_mfma_i32_16x16x32_i8 v[64:67], a[142:143], v[206:207], v[64:67]// 0000000091E0: D3D70040 0D039D8E
	v_mfma_i32_16x16x32_i8 v[68:71], a[128:129], v[208:209], v[68:71]// 0000000091E8: D3D70044 0D13A180
	buffer_load_dwordx4 a[8:11], v34, s[24:27], 0 offen offset:2048// 0000000091F0: E05C1800 80860822
	v_mfma_i32_16x16x32_i8 v[68:71], a[130:131], v[210:211], v[68:71]// 0000000091F8: D3D70044 0D13A582
	v_mfma_i32_16x16x32_i8 v[68:71], a[132:133], v[212:213], v[68:71]// 000000009200: D3D70044 0D13A984
	v_mfma_i32_16x16x32_i8 v[68:71], a[134:135], v[214:215], v[68:71]// 000000009208: D3D70044 0D13AD86
	v_mfma_i32_16x16x32_i8 v[68:71], a[136:137], v[216:217], v[68:71]// 000000009210: D3D70044 0D13B188
	buffer_load_dwordx4 a[12:15], v34, s[24:27], 0 offen offset:3072// 000000009218: E05C1C00 80860C22
	v_mfma_i32_16x16x32_i8 v[68:71], a[138:139], v[218:219], v[68:71]// 000000009220: D3D70044 0D13B58A
	v_mfma_i32_16x16x32_i8 v[68:71], a[140:141], v[220:221], v[68:71]// 000000009228: D3D70044 0D13B98C
	v_mfma_i32_16x16x32_i8 v[68:71], a[142:143], v[222:223], v[68:71]// 000000009230: D3D70044 0D13BD8E
	v_mfma_i32_16x16x32_i8 v[72:75], a[144:145], v[192:193], v[72:75]// 000000009238: D3D70048 0D238190
	buffer_load_dwordx4 a[16:19], v35, s[24:27], 0 offen       // 000000009240: E05C1000 80861023
	v_mfma_i32_16x16x32_i8 v[72:75], a[146:147], v[194:195], v[72:75]// 000000009248: D3D70048 0D238592
	v_mfma_i32_16x16x32_i8 v[72:75], a[148:149], v[196:197], v[72:75]// 000000009250: D3D70048 0D238994
	v_mfma_i32_16x16x32_i8 v[72:75], a[150:151], v[198:199], v[72:75]// 000000009258: D3D70048 0D238D96
	v_mfma_i32_16x16x32_i8 v[72:75], a[152:153], v[200:201], v[72:75]// 000000009260: D3D70048 0D239198
	buffer_load_dwordx4 a[20:23], v35, s[24:27], 0 offen offset:1024// 000000009268: E05C1400 80861423
	v_mfma_i32_16x16x32_i8 v[72:75], a[154:155], v[202:203], v[72:75]// 000000009270: D3D70048 0D23959A
	v_mfma_i32_16x16x32_i8 v[72:75], a[156:157], v[204:205], v[72:75]// 000000009278: D3D70048 0D23999C
	v_mfma_i32_16x16x32_i8 v[72:75], a[158:159], v[206:207], v[72:75]// 000000009280: D3D70048 0D239D9E
	v_mfma_i32_16x16x32_i8 v[76:79], a[144:145], v[208:209], v[76:79]// 000000009288: D3D7004C 0D33A190
	buffer_load_dwordx4 a[24:27], v35, s[24:27], 0 offen offset:2048// 000000009290: E05C1800 80861823
	v_mfma_i32_16x16x32_i8 v[76:79], a[146:147], v[210:211], v[76:79]// 000000009298: D3D7004C 0D33A592
	v_mfma_i32_16x16x32_i8 v[76:79], a[148:149], v[212:213], v[76:79]// 0000000092A0: D3D7004C 0D33A994
	v_mfma_i32_16x16x32_i8 v[76:79], a[150:151], v[214:215], v[76:79]// 0000000092A8: D3D7004C 0D33AD96
	v_mfma_i32_16x16x32_i8 v[76:79], a[152:153], v[216:217], v[76:79]// 0000000092B0: D3D7004C 0D33B198
	buffer_load_dwordx4 a[28:31], v35, s[24:27], 0 offen offset:3072// 0000000092B8: E05C1C00 80861C23
	v_mfma_i32_16x16x32_i8 v[76:79], a[154:155], v[218:219], v[76:79]// 0000000092C0: D3D7004C 0D33B59A
	v_mfma_i32_16x16x32_i8 v[76:79], a[156:157], v[220:221], v[76:79]// 0000000092C8: D3D7004C 0D33B99C
	v_mfma_i32_16x16x32_i8 v[76:79], a[158:159], v[222:223], v[76:79]// 0000000092D0: D3D7004C 0D33BD9E
	s_waitcnt vmcnt(28)                                        // 0000000092D8: BF8C4F7C
	v_mfma_i32_16x16x32_i8 v[80:83], a[160:161], v[192:193], v[80:83]// 0000000092DC: D3D70050 0D4381A0
	buffer_load_dwordx4 a[32:35], v36, s[24:27], 0 offen       // 0000000092E4: E05C1000 80862024
	v_mfma_i32_16x16x32_i8 v[80:83], a[162:163], v[194:195], v[80:83]// 0000000092EC: D3D70050 0D4385A2
	v_mfma_i32_16x16x32_i8 v[80:83], a[164:165], v[196:197], v[80:83]// 0000000092F4: D3D70050 0D4389A4
	ds_read_b128 v[224:227], v2 offset:8320                    // 0000000092FC: D9FE2080 E0000002
	v_mfma_i32_16x16x32_i8 v[80:83], a[166:167], v[198:199], v[80:83]// 000000009304: D3D70050 0D438DA6
	v_mfma_i32_16x16x32_i8 v[80:83], a[168:169], v[200:201], v[80:83]// 00000000930C: D3D70050 0D4391A8
	buffer_load_dwordx4 a[36:39], v36, s[24:27], 0 offen offset:1024// 000000009314: E05C1400 80862424
	v_mfma_i32_16x16x32_i8 v[80:83], a[170:171], v[202:203], v[80:83]// 00000000931C: D3D70050 0D4395AA
	v_mfma_i32_16x16x32_i8 v[80:83], a[172:173], v[204:205], v[80:83]// 000000009324: D3D70050 0D4399AC
	ds_read_b128 v[228:231], v2 offset:8384                    // 00000000932C: D9FE20C0 E4000002
	v_mfma_i32_16x16x32_i8 v[80:83], a[174:175], v[206:207], v[80:83]// 000000009334: D3D70050 0D439DAE
	v_mfma_i32_16x16x32_i8 v[84:87], a[160:161], v[208:209], v[84:87]// 00000000933C: D3D70054 0D53A1A0
	buffer_load_dwordx4 a[40:43], v36, s[24:27], 0 offen offset:2048// 000000009344: E05C1800 80862824
	v_mfma_i32_16x16x32_i8 v[84:87], a[162:163], v[210:211], v[84:87]// 00000000934C: D3D70054 0D53A5A2
	v_mfma_i32_16x16x32_i8 v[84:87], a[164:165], v[212:213], v[84:87]// 000000009354: D3D70054 0D53A9A4
	ds_read_b128 v[232:235], v2 offset:8448                    // 00000000935C: D9FE2100 E8000002
	v_mfma_i32_16x16x32_i8 v[84:87], a[166:167], v[214:215], v[84:87]// 000000009364: D3D70054 0D53ADA6
	v_mfma_i32_16x16x32_i8 v[84:87], a[168:169], v[216:217], v[84:87]// 00000000936C: D3D70054 0D53B1A8
	buffer_load_dwordx4 a[44:47], v36, s[24:27], 0 offen offset:3072// 000000009374: E05C1C00 80862C24
	v_mfma_i32_16x16x32_i8 v[84:87], a[170:171], v[218:219], v[84:87]// 00000000937C: D3D70054 0D53B5AA
	v_mfma_i32_16x16x32_i8 v[84:87], a[172:173], v[220:221], v[84:87]// 000000009384: D3D70054 0D53B9AC
	ds_read_b128 v[236:239], v2 offset:8512                    // 00000000938C: D9FE2140 EC000002
	v_mfma_i32_16x16x32_i8 v[84:87], a[174:175], v[222:223], v[84:87]// 000000009394: D3D70054 0D53BDAE
	s_waitcnt vmcnt(28)                                        // 00000000939C: BF8C4F7C
	v_mfma_i32_16x16x32_i8 v[88:91], a[176:177], v[192:193], v[88:91]// 0000000093A0: D3D70058 0D6381B0
	buffer_load_dwordx4 a[48:51], v37, s[24:27], 0 offen       // 0000000093A8: E05C1000 80863025
	v_mfma_i32_16x16x32_i8 v[88:91], a[178:179], v[194:195], v[88:91]// 0000000093B0: D3D70058 0D6385B2
	v_mfma_i32_16x16x32_i8 v[88:91], a[180:181], v[196:197], v[88:91]// 0000000093B8: D3D70058 0D6389B4
	ds_read_b128 v[240:243], v2 offset:9344                    // 0000000093C0: D9FE2480 F0000002
	v_mfma_i32_16x16x32_i8 v[88:91], a[182:183], v[198:199], v[88:91]// 0000000093C8: D3D70058 0D638DB6
	v_mfma_i32_16x16x32_i8 v[88:91], a[184:185], v[200:201], v[88:91]// 0000000093D0: D3D70058 0D6391B8
	buffer_load_dwordx4 a[52:55], v37, s[24:27], 0 offen offset:1024// 0000000093D8: E05C1400 80863425
	v_mfma_i32_16x16x32_i8 v[88:91], a[186:187], v[202:203], v[88:91]// 0000000093E0: D3D70058 0D6395BA
	v_mfma_i32_16x16x32_i8 v[88:91], a[188:189], v[204:205], v[88:91]// 0000000093E8: D3D70058 0D6399BC
	ds_read_b128 v[244:247], v2 offset:9408                    // 0000000093F0: D9FE24C0 F4000002
	v_mfma_i32_16x16x32_i8 v[88:91], a[190:191], v[206:207], v[88:91]// 0000000093F8: D3D70058 0D639DBE
	v_mfma_i32_16x16x32_i8 v[92:95], a[176:177], v[208:209], v[92:95]// 000000009400: D3D7005C 0D73A1B0
	buffer_load_dwordx4 a[56:59], v37, s[24:27], 0 offen offset:2048// 000000009408: E05C1800 80863825
	v_mfma_i32_16x16x32_i8 v[92:95], a[178:179], v[210:211], v[92:95]// 000000009410: D3D7005C 0D73A5B2
	v_mfma_i32_16x16x32_i8 v[92:95], a[180:181], v[212:213], v[92:95]// 000000009418: D3D7005C 0D73A9B4
	ds_read_b128 v[248:251], v2 offset:9472                    // 000000009420: D9FE2500 F8000002
	v_mfma_i32_16x16x32_i8 v[92:95], a[182:183], v[214:215], v[92:95]// 000000009428: D3D7005C 0D73ADB6
	v_mfma_i32_16x16x32_i8 v[92:95], a[184:185], v[216:217], v[92:95]// 000000009430: D3D7005C 0D73B1B8
	buffer_load_dwordx4 a[60:63], v37, s[24:27], 0 offen offset:3072// 000000009438: E05C1C00 80863C25
	v_mfma_i32_16x16x32_i8 v[92:95], a[186:187], v[218:219], v[92:95]// 000000009440: D3D7005C 0D73B5BA
	v_mfma_i32_16x16x32_i8 v[92:95], a[188:189], v[220:221], v[92:95]// 000000009448: D3D7005C 0D73B9BC
	ds_read_b128 v[252:255], v2 offset:9536                    // 000000009450: D9FE2540 FC000002
	v_mfma_i32_16x16x32_i8 v[92:95], a[190:191], v[222:223], v[92:95]// 000000009458: D3D7005C 0D73BDBE
	s_waitcnt vmcnt(28)                                        // 000000009460: BF8C4F7C
	v_mfma_i32_16x16x32_i8 v[96:99], a[192:193], v[192:193], v[96:99]// 000000009464: D3D70060 0D8381C0
	buffer_load_dwordx4 a[64:67], v38, s[24:27], 0 offen       // 00000000946C: E05C1000 80864026
	v_mfma_i32_16x16x32_i8 v[96:99], a[194:195], v[194:195], v[96:99]// 000000009474: D3D70060 0D8385C2
	v_mfma_i32_16x16x32_i8 v[96:99], a[196:197], v[196:197], v[96:99]// 00000000947C: D3D70060 0D8389C4
	v_mfma_i32_16x16x32_i8 v[96:99], a[198:199], v[198:199], v[96:99]// 000000009484: D3D70060 0D838DC6
	v_mfma_i32_16x16x32_i8 v[96:99], a[200:201], v[200:201], v[96:99]// 00000000948C: D3D70060 0D8391C8
	buffer_load_dwordx4 a[68:71], v38, s[24:27], 0 offen offset:1024// 000000009494: E05C1400 80864426
	v_mfma_i32_16x16x32_i8 v[96:99], a[202:203], v[202:203], v[96:99]// 00000000949C: D3D70060 0D8395CA
	v_mfma_i32_16x16x32_i8 v[96:99], a[204:205], v[204:205], v[96:99]// 0000000094A4: D3D70060 0D8399CC
	v_mfma_i32_16x16x32_i8 v[96:99], a[206:207], v[206:207], v[96:99]// 0000000094AC: D3D70060 0D839DCE
	v_mfma_i32_16x16x32_i8 v[100:103], a[192:193], v[208:209], v[100:103]// 0000000094B4: D3D70064 0D93A1C0
	buffer_load_dwordx4 a[72:75], v38, s[24:27], 0 offen offset:2048// 0000000094BC: E05C1800 80864826
	v_mfma_i32_16x16x32_i8 v[100:103], a[194:195], v[210:211], v[100:103]// 0000000094C4: D3D70064 0D93A5C2
	v_mfma_i32_16x16x32_i8 v[100:103], a[196:197], v[212:213], v[100:103]// 0000000094CC: D3D70064 0D93A9C4
	v_mfma_i32_16x16x32_i8 v[100:103], a[198:199], v[214:215], v[100:103]// 0000000094D4: D3D70064 0D93ADC6
	v_mfma_i32_16x16x32_i8 v[100:103], a[200:201], v[216:217], v[100:103]// 0000000094DC: D3D70064 0D93B1C8
	buffer_load_dwordx4 a[76:79], v38, s[24:27], 0 offen offset:3072// 0000000094E4: E05C1C00 80864C26
	v_mfma_i32_16x16x32_i8 v[100:103], a[202:203], v[218:219], v[100:103]// 0000000094EC: D3D70064 0D93B5CA
	v_mfma_i32_16x16x32_i8 v[100:103], a[204:205], v[220:221], v[100:103]// 0000000094F4: D3D70064 0D93B9CC
	v_mfma_i32_16x16x32_i8 v[100:103], a[206:207], v[222:223], v[100:103]// 0000000094FC: D3D70064 0D93BDCE
	s_waitcnt vmcnt(28)                                        // 000000009504: BF8C4F7C
	v_mfma_i32_16x16x32_i8 v[104:107], a[208:209], v[192:193], v[104:107]// 000000009508: D3D70068 0DA381D0
	buffer_load_dwordx4 a[80:83], v39, s[24:27], 0 offen       // 000000009510: E05C1000 80865027
	v_mfma_i32_16x16x32_i8 v[104:107], a[210:211], v[194:195], v[104:107]// 000000009518: D3D70068 0DA385D2
	v_mfma_i32_16x16x32_i8 v[104:107], a[212:213], v[196:197], v[104:107]// 000000009520: D3D70068 0DA389D4
	v_mfma_i32_16x16x32_i8 v[104:107], a[214:215], v[198:199], v[104:107]// 000000009528: D3D70068 0DA38DD6
	v_mfma_i32_16x16x32_i8 v[104:107], a[216:217], v[200:201], v[104:107]// 000000009530: D3D70068 0DA391D8
	buffer_load_dwordx4 a[84:87], v39, s[24:27], 0 offen offset:1024// 000000009538: E05C1400 80865427
	v_mfma_i32_16x16x32_i8 v[104:107], a[218:219], v[202:203], v[104:107]// 000000009540: D3D70068 0DA395DA
	v_mfma_i32_16x16x32_i8 v[104:107], a[220:221], v[204:205], v[104:107]// 000000009548: D3D70068 0DA399DC
	v_mfma_i32_16x16x32_i8 v[104:107], a[222:223], v[206:207], v[104:107]// 000000009550: D3D70068 0DA39DDE
	v_mfma_i32_16x16x32_i8 v[108:111], a[208:209], v[208:209], v[108:111]// 000000009558: D3D7006C 0DB3A1D0
	buffer_load_dwordx4 a[88:91], v39, s[24:27], 0 offen offset:2048// 000000009560: E05C1800 80865827
	v_mfma_i32_16x16x32_i8 v[108:111], a[210:211], v[210:211], v[108:111]// 000000009568: D3D7006C 0DB3A5D2
	v_mfma_i32_16x16x32_i8 v[108:111], a[212:213], v[212:213], v[108:111]// 000000009570: D3D7006C 0DB3A9D4
	v_mfma_i32_16x16x32_i8 v[108:111], a[214:215], v[214:215], v[108:111]// 000000009578: D3D7006C 0DB3ADD6
	v_mfma_i32_16x16x32_i8 v[108:111], a[216:217], v[216:217], v[108:111]// 000000009580: D3D7006C 0DB3B1D8
	buffer_load_dwordx4 a[92:95], v39, s[24:27], 0 offen offset:3072// 000000009588: E05C1C00 80865C27
	v_mfma_i32_16x16x32_i8 v[108:111], a[218:219], v[218:219], v[108:111]// 000000009590: D3D7006C 0DB3B5DA
	v_mfma_i32_16x16x32_i8 v[108:111], a[220:221], v[220:221], v[108:111]// 000000009598: D3D7006C 0DB3B9DC
	v_mfma_i32_16x16x32_i8 v[108:111], a[222:223], v[222:223], v[108:111]// 0000000095A0: D3D7006C 0DB3BDDE
	s_waitcnt vmcnt(28)                                        // 0000000095A8: BF8C4F7C
	v_mfma_i32_16x16x32_i8 v[112:115], a[224:225], v[192:193], v[112:115]// 0000000095AC: D3D70070 0DC381E0
	buffer_load_dwordx4 a[96:99], v40, s[24:27], 0 offen       // 0000000095B4: E05C1000 80866028
	v_mfma_i32_16x16x32_i8 v[112:115], a[226:227], v[194:195], v[112:115]// 0000000095BC: D3D70070 0DC385E2
	v_mfma_i32_16x16x32_i8 v[112:115], a[228:229], v[196:197], v[112:115]// 0000000095C4: D3D70070 0DC389E4
	v_mfma_i32_16x16x32_i8 v[112:115], a[230:231], v[198:199], v[112:115]// 0000000095CC: D3D70070 0DC38DE6
	v_mfma_i32_16x16x32_i8 v[112:115], a[232:233], v[200:201], v[112:115]// 0000000095D4: D3D70070 0DC391E8
	buffer_load_dwordx4 a[100:103], v40, s[24:27], 0 offen offset:1024// 0000000095DC: E05C1400 80866428
	v_mfma_i32_16x16x32_i8 v[112:115], a[234:235], v[202:203], v[112:115]// 0000000095E4: D3D70070 0DC395EA
	v_mfma_i32_16x16x32_i8 v[112:115], a[236:237], v[204:205], v[112:115]// 0000000095EC: D3D70070 0DC399EC
	v_mfma_i32_16x16x32_i8 v[112:115], a[238:239], v[206:207], v[112:115]// 0000000095F4: D3D70070 0DC39DEE
	v_mfma_i32_16x16x32_i8 v[116:119], a[224:225], v[208:209], v[116:119]// 0000000095FC: D3D70074 0DD3A1E0
	buffer_load_dwordx4 a[104:107], v40, s[24:27], 0 offen offset:2048// 000000009604: E05C1800 80866828
	v_mfma_i32_16x16x32_i8 v[116:119], a[226:227], v[210:211], v[116:119]// 00000000960C: D3D70074 0DD3A5E2
	v_mfma_i32_16x16x32_i8 v[116:119], a[228:229], v[212:213], v[116:119]// 000000009614: D3D70074 0DD3A9E4
	v_mfma_i32_16x16x32_i8 v[116:119], a[230:231], v[214:215], v[116:119]// 00000000961C: D3D70074 0DD3ADE6
	v_mfma_i32_16x16x32_i8 v[116:119], a[232:233], v[216:217], v[116:119]// 000000009624: D3D70074 0DD3B1E8
	buffer_load_dwordx4 a[108:111], v40, s[24:27], 0 offen offset:3072// 00000000962C: E05C1C00 80866C28
	v_mfma_i32_16x16x32_i8 v[116:119], a[234:235], v[218:219], v[116:119]// 000000009634: D3D70074 0DD3B5EA
	v_mfma_i32_16x16x32_i8 v[116:119], a[236:237], v[220:221], v[116:119]// 00000000963C: D3D70074 0DD3B9EC
	v_mfma_i32_16x16x32_i8 v[116:119], a[238:239], v[222:223], v[116:119]// 000000009644: D3D70074 0DD3BDEE
	s_waitcnt vmcnt(28)                                        // 00000000964C: BF8C4F7C
	v_mfma_i32_16x16x32_i8 v[120:123], a[240:241], v[192:193], v[120:123]// 000000009650: D3D70078 0DE381F0
	buffer_load_dwordx4 a[112:115], v41, s[24:27], 0 offen     // 000000009658: E05C1000 80867029
	v_mfma_i32_16x16x32_i8 v[120:123], a[242:243], v[194:195], v[120:123]// 000000009660: D3D70078 0DE385F2
	v_mfma_i32_16x16x32_i8 v[120:123], a[244:245], v[196:197], v[120:123]// 000000009668: D3D70078 0DE389F4
	v_mfma_i32_16x16x32_i8 v[120:123], a[246:247], v[198:199], v[120:123]// 000000009670: D3D70078 0DE38DF6
	v_mfma_i32_16x16x32_i8 v[120:123], a[248:249], v[200:201], v[120:123]// 000000009678: D3D70078 0DE391F8
	buffer_load_dwordx4 a[116:119], v41, s[24:27], 0 offen offset:1024// 000000009680: E05C1400 80867429
	v_mfma_i32_16x16x32_i8 v[120:123], a[250:251], v[202:203], v[120:123]// 000000009688: D3D70078 0DE395FA
	v_mfma_i32_16x16x32_i8 v[120:123], a[252:253], v[204:205], v[120:123]// 000000009690: D3D70078 0DE399FC
	v_mfma_i32_16x16x32_i8 v[120:123], a[254:255], v[206:207], v[120:123]// 000000009698: D3D70078 0DE39DFE
	v_mfma_i32_16x16x32_i8 v[124:127], a[240:241], v[208:209], v[124:127]// 0000000096A0: D3D7007C 0DF3A1F0
	buffer_load_dwordx4 a[120:123], v41, s[24:27], 0 offen offset:2048// 0000000096A8: E05C1800 80867829
	v_mfma_i32_16x16x32_i8 v[124:127], a[242:243], v[210:211], v[124:127]// 0000000096B0: D3D7007C 0DF3A5F2
	v_mfma_i32_16x16x32_i8 v[124:127], a[244:245], v[212:213], v[124:127]// 0000000096B8: D3D7007C 0DF3A9F4
	v_mfma_i32_16x16x32_i8 v[124:127], a[246:247], v[214:215], v[124:127]// 0000000096C0: D3D7007C 0DF3ADF6
	v_mfma_i32_16x16x32_i8 v[124:127], a[248:249], v[216:217], v[124:127]// 0000000096C8: D3D7007C 0DF3B1F8
	buffer_load_dwordx4 a[124:127], v41, s[24:27], 0 offen offset:3072// 0000000096D0: E05C1C00 80867C29
	v_mfma_i32_16x16x32_i8 v[124:127], a[250:251], v[218:219], v[124:127]// 0000000096D8: D3D7007C 0DF3B5FA
	v_mfma_i32_16x16x32_i8 v[124:127], a[252:253], v[220:221], v[124:127]// 0000000096E0: D3D7007C 0DF3B9FC
	v_mfma_i32_16x16x32_i8 v[124:127], a[254:255], v[222:223], v[124:127]// 0000000096E8: D3D7007C 0DF3BDFE
	s_add_u32 s60, 0x200, s80                                  // 0000000096F0: 803C50FF 00000200
	s_cmp_lt_u32 s60, s81                                      // 0000000096F8: BF0A513C
	s_cselect_b32 s57, s57, 0                                  // 0000000096FC: 85398039
	s_add_u32 s60, 0x200, s80                                  // 000000009700: 803C50FF 00000200
	s_cmp_lt_u32 s60, s81                                      // 000000009708: BF0A513C
	s_cselect_b32 s58, s58, 0                                  // 00000000970C: 853A803A
	s_add_u32 s20, s57, s20                                    // 000000009710: 80141439
	s_addc_u32 s21, 0, s21                                     // 000000009714: 82151580
	s_add_u32 s24, s58, s24                                    // 000000009718: 8018183A
	s_addc_u32 s25, 0, s25                                     // 00000000971C: 82191980
	s_add_u32 s92, s90, s92                                    // 000000009720: 805C5C5A
	s_addc_u32 s93, 0, s93                                     // 000000009724: 825D5D80
	s_addk_i32 s80, 0x100                                      // 000000009728: B7500100
	s_cmp_lt_i32 s80, s81                                      // 00000000972C: BF045150
	s_cbranch_scc0 label_1D1E                                  // 000000009730: BF8402D1
	s_waitcnt vmcnt(24) lgkmcnt(0)                             // 000000009734: BF8C4078
	s_barrier                                                  // 000000009738: BF8A0000
	v_mfma_i32_16x16x32_i8 v[128:131], a[0:1], v[224:225], v[128:131]// 00000000973C: D3D70080 0E03C100
	buffer_load_dwordx4 a[128:131], v34, s[92:95], 0 offen     // 000000009744: E05C1000 80978022
	v_mfma_i32_16x16x32_i8 v[128:131], a[2:3], v[226:227], v[128:131]// 00000000974C: D3D70080 0E03C502
	v_mfma_i32_16x16x32_i8 v[128:131], a[4:5], v[228:229], v[128:131]// 000000009754: D3D70080 0E03C904
	buffer_load_dword v26, s[20:23], 0 offen lds               // 00000000975C: E0511000 8005001A
	s_add_u32 m0, 0x100, s50                                   // 000000009764: 807C32FF 00000100
	v_mfma_i32_16x16x32_i8 v[128:131], a[6:7], v[230:231], v[128:131]// 00000000976C: D3D70080 0E03CD06
	v_mfma_i32_16x16x32_i8 v[128:131], a[8:9], v[232:233], v[128:131]// 000000009774: D3D70080 0E03D108
	buffer_load_dwordx4 a[132:135], v34, s[92:95], 0 offen offset:1024// 00000000977C: E05C1400 80978422
	v_mfma_i32_16x16x32_i8 v[128:131], a[10:11], v[234:235], v[128:131]// 000000009784: D3D70080 0E03D50A
	v_mfma_i32_16x16x32_i8 v[128:131], a[12:13], v[236:237], v[128:131]// 00000000978C: D3D70080 0E03D90C
	buffer_load_dword v27, s[20:23], 0 offen lds               // 000000009794: E0511000 8005001B
	s_add_u32 m0, 0x200, s50                                   // 00000000979C: 807C32FF 00000200
	v_mfma_i32_16x16x32_i8 v[128:131], a[14:15], v[238:239], v[128:131]// 0000000097A4: D3D70080 0E03DD0E
	v_mfma_i32_16x16x32_i8 v[132:135], a[0:1], v[240:241], v[132:135]// 0000000097AC: D3D70084 0E13E100
	buffer_load_dwordx4 a[136:139], v34, s[92:95], 0 offen offset:2048// 0000000097B4: E05C1800 80978822
	v_mfma_i32_16x16x32_i8 v[132:135], a[2:3], v[242:243], v[132:135]// 0000000097BC: D3D70084 0E13E502
	v_mfma_i32_16x16x32_i8 v[132:135], a[4:5], v[244:245], v[132:135]// 0000000097C4: D3D70084 0E13E904
	buffer_load_dword v28, s[20:23], 0 offen lds               // 0000000097CC: E0511000 8005001C
	s_add_u32 m0, 0x300, s50                                   // 0000000097D4: 807C32FF 00000300
	v_mfma_i32_16x16x32_i8 v[132:135], a[6:7], v[246:247], v[132:135]// 0000000097DC: D3D70084 0E13ED06
	v_mfma_i32_16x16x32_i8 v[132:135], a[8:9], v[248:249], v[132:135]// 0000000097E4: D3D70084 0E13F108
	buffer_load_dwordx4 a[140:143], v34, s[92:95], 0 offen offset:3072// 0000000097EC: E05C1C00 80978C22
	v_mfma_i32_16x16x32_i8 v[132:135], a[10:11], v[250:251], v[132:135]// 0000000097F4: D3D70084 0E13F50A
	v_mfma_i32_16x16x32_i8 v[132:135], a[12:13], v[252:253], v[132:135]// 0000000097FC: D3D70084 0E13F90C
	buffer_load_dword v29, s[20:23], 0 offen lds               // 000000009804: E0511000 8005001D
	s_add_u32 m0, 0x400, s50                                   // 00000000980C: 807C32FF 00000400
	v_mfma_i32_16x16x32_i8 v[132:135], a[14:15], v[254:255], v[132:135]// 000000009814: D3D70084 0E13FD0E
	v_mfma_i32_16x16x32_i8 v[136:139], a[16:17], v[224:225], v[136:139]// 00000000981C: D3D70088 0E23C110
	buffer_load_dwordx4 a[144:147], v35, s[92:95], 0 offen     // 000000009824: E05C1000 80979023
	v_mfma_i32_16x16x32_i8 v[136:139], a[18:19], v[226:227], v[136:139]// 00000000982C: D3D70088 0E23C512
	v_mfma_i32_16x16x32_i8 v[136:139], a[20:21], v[228:229], v[136:139]// 000000009834: D3D70088 0E23C914
	buffer_load_dword v30, s[20:23], 0 offen lds               // 00000000983C: E0511000 8005001E
	s_add_u32 m0, 0x500, s50                                   // 000000009844: 807C32FF 00000500
	v_mfma_i32_16x16x32_i8 v[136:139], a[22:23], v[230:231], v[136:139]// 00000000984C: D3D70088 0E23CD16
	v_mfma_i32_16x16x32_i8 v[136:139], a[24:25], v[232:233], v[136:139]// 000000009854: D3D70088 0E23D118
	buffer_load_dwordx4 a[148:151], v35, s[92:95], 0 offen offset:1024// 00000000985C: E05C1400 80979423
	v_mfma_i32_16x16x32_i8 v[136:139], a[26:27], v[234:235], v[136:139]// 000000009864: D3D70088 0E23D51A
	v_mfma_i32_16x16x32_i8 v[136:139], a[28:29], v[236:237], v[136:139]// 00000000986C: D3D70088 0E23D91C
	buffer_load_dword v31, s[20:23], 0 offen lds               // 000000009874: E0511000 8005001F
	s_add_u32 m0, 0x600, s50                                   // 00000000987C: 807C32FF 00000600
	v_mfma_i32_16x16x32_i8 v[136:139], a[30:31], v[238:239], v[136:139]// 000000009884: D3D70088 0E23DD1E
	v_mfma_i32_16x16x32_i8 v[140:143], a[16:17], v[240:241], v[140:143]// 00000000988C: D3D7008C 0E33E110
	buffer_load_dwordx4 a[152:155], v35, s[92:95], 0 offen offset:2048// 000000009894: E05C1800 80979823
	v_mfma_i32_16x16x32_i8 v[140:143], a[18:19], v[242:243], v[140:143]// 00000000989C: D3D7008C 0E33E512
	v_mfma_i32_16x16x32_i8 v[140:143], a[20:21], v[244:245], v[140:143]// 0000000098A4: D3D7008C 0E33E914
	buffer_load_dword v32, s[20:23], 0 offen lds               // 0000000098AC: E0511000 80050020
	s_add_u32 m0, 0x700, s50                                   // 0000000098B4: 807C32FF 00000700
	v_mfma_i32_16x16x32_i8 v[140:143], a[22:23], v[246:247], v[140:143]// 0000000098BC: D3D7008C 0E33ED16
	v_mfma_i32_16x16x32_i8 v[140:143], a[24:25], v[248:249], v[140:143]// 0000000098C4: D3D7008C 0E33F118
	buffer_load_dwordx4 a[156:159], v35, s[92:95], 0 offen offset:3072// 0000000098CC: E05C1C00 80979C23
	v_mfma_i32_16x16x32_i8 v[140:143], a[26:27], v[250:251], v[140:143]// 0000000098D4: D3D7008C 0E33F51A
	v_mfma_i32_16x16x32_i8 v[140:143], a[28:29], v[252:253], v[140:143]// 0000000098DC: D3D7008C 0E33F91C
	buffer_load_dword v33, s[20:23], 0 offen lds               // 0000000098E4: E0511000 80050021
	s_add_u32 m0, 0, s51                                       // 0000000098EC: 807C3380
	v_mfma_i32_16x16x32_i8 v[140:143], a[30:31], v[254:255], v[140:143]// 0000000098F0: D3D7008C 0E33FD1E
	s_waitcnt vmcnt(36)                                        // 0000000098F8: BF8C8F74
	v_mfma_i32_16x16x32_i8 v[144:147], a[32:33], v[224:225], v[144:147]// 0000000098FC: D3D70090 0E43C120
	buffer_load_dwordx4 a[160:163], v36, s[92:95], 0 offen     // 000000009904: E05C1000 8097A024
	v_mfma_i32_16x16x32_i8 v[144:147], a[34:35], v[226:227], v[144:147]// 00000000990C: D3D70090 0E43C522
	v_mfma_i32_16x16x32_i8 v[144:147], a[36:37], v[228:229], v[144:147]// 000000009914: D3D70090 0E43C924
	v_mfma_i32_16x16x32_i8 v[144:147], a[38:39], v[230:231], v[144:147]// 00000000991C: D3D70090 0E43CD26
	v_mfma_i32_16x16x32_i8 v[144:147], a[40:41], v[232:233], v[144:147]// 000000009924: D3D70090 0E43D128
	buffer_load_dwordx4 a[164:167], v36, s[92:95], 0 offen offset:1024// 00000000992C: E05C1400 8097A424
	v_mfma_i32_16x16x32_i8 v[144:147], a[42:43], v[234:235], v[144:147]// 000000009934: D3D70090 0E43D52A
	v_mfma_i32_16x16x32_i8 v[144:147], a[44:45], v[236:237], v[144:147]// 00000000993C: D3D70090 0E43D92C
	v_mfma_i32_16x16x32_i8 v[144:147], a[46:47], v[238:239], v[144:147]// 000000009944: D3D70090 0E43DD2E
	v_mfma_i32_16x16x32_i8 v[148:151], a[32:33], v[240:241], v[148:151]// 00000000994C: D3D70094 0E53E120
	buffer_load_dwordx4 a[168:171], v36, s[92:95], 0 offen offset:2048// 000000009954: E05C1800 8097A824
	v_mfma_i32_16x16x32_i8 v[148:151], a[34:35], v[242:243], v[148:151]// 00000000995C: D3D70094 0E53E522
	v_mfma_i32_16x16x32_i8 v[148:151], a[36:37], v[244:245], v[148:151]// 000000009964: D3D70094 0E53E924
	v_mfma_i32_16x16x32_i8 v[148:151], a[38:39], v[246:247], v[148:151]// 00000000996C: D3D70094 0E53ED26
	v_mfma_i32_16x16x32_i8 v[148:151], a[40:41], v[248:249], v[148:151]// 000000009974: D3D70094 0E53F128
	buffer_load_dwordx4 a[172:175], v36, s[92:95], 0 offen offset:3072// 00000000997C: E05C1C00 8097AC24
	v_mfma_i32_16x16x32_i8 v[148:151], a[42:43], v[250:251], v[148:151]// 000000009984: D3D70094 0E53F52A
	v_mfma_i32_16x16x32_i8 v[148:151], a[44:45], v[252:253], v[148:151]// 00000000998C: D3D70094 0E53F92C
	v_mfma_i32_16x16x32_i8 v[148:151], a[46:47], v[254:255], v[148:151]// 000000009994: D3D70094 0E53FD2E
	s_waitcnt vmcnt(36)                                        // 00000000999C: BF8C8F74
	v_mfma_i32_16x16x32_i8 v[152:155], a[48:49], v[224:225], v[152:155]// 0000000099A0: D3D70098 0E63C130
	buffer_load_dwordx4 a[176:179], v37, s[92:95], 0 offen     // 0000000099A8: E05C1000 8097B025
	v_mfma_i32_16x16x32_i8 v[152:155], a[50:51], v[226:227], v[152:155]// 0000000099B0: D3D70098 0E63C532
	v_mfma_i32_16x16x32_i8 v[152:155], a[52:53], v[228:229], v[152:155]// 0000000099B8: D3D70098 0E63C934
	v_mfma_i32_16x16x32_i8 v[152:155], a[54:55], v[230:231], v[152:155]// 0000000099C0: D3D70098 0E63CD36
	v_mfma_i32_16x16x32_i8 v[152:155], a[56:57], v[232:233], v[152:155]// 0000000099C8: D3D70098 0E63D138
	buffer_load_dwordx4 a[180:183], v37, s[92:95], 0 offen offset:1024// 0000000099D0: E05C1400 8097B425
	v_mfma_i32_16x16x32_i8 v[152:155], a[58:59], v[234:235], v[152:155]// 0000000099D8: D3D70098 0E63D53A
	v_mfma_i32_16x16x32_i8 v[152:155], a[60:61], v[236:237], v[152:155]// 0000000099E0: D3D70098 0E63D93C
	v_mfma_i32_16x16x32_i8 v[152:155], a[62:63], v[238:239], v[152:155]// 0000000099E8: D3D70098 0E63DD3E
	v_mfma_i32_16x16x32_i8 v[156:159], a[48:49], v[240:241], v[156:159]// 0000000099F0: D3D7009C 0E73E130
	buffer_load_dwordx4 a[184:187], v37, s[92:95], 0 offen offset:2048// 0000000099F8: E05C1800 8097B825
	v_mfma_i32_16x16x32_i8 v[156:159], a[50:51], v[242:243], v[156:159]// 000000009A00: D3D7009C 0E73E532
	v_mfma_i32_16x16x32_i8 v[156:159], a[52:53], v[244:245], v[156:159]// 000000009A08: D3D7009C 0E73E934
	v_mfma_i32_16x16x32_i8 v[156:159], a[54:55], v[246:247], v[156:159]// 000000009A10: D3D7009C 0E73ED36
	v_mfma_i32_16x16x32_i8 v[156:159], a[56:57], v[248:249], v[156:159]// 000000009A18: D3D7009C 0E73F138
	buffer_load_dwordx4 a[188:191], v37, s[92:95], 0 offen offset:3072// 000000009A20: E05C1C00 8097BC25
	v_mfma_i32_16x16x32_i8 v[156:159], a[58:59], v[250:251], v[156:159]// 000000009A28: D3D7009C 0E73F53A
	v_mfma_i32_16x16x32_i8 v[156:159], a[60:61], v[252:253], v[156:159]// 000000009A30: D3D7009C 0E73F93C
	v_mfma_i32_16x16x32_i8 v[156:159], a[62:63], v[254:255], v[156:159]// 000000009A38: D3D7009C 0E73FD3E
	s_waitcnt vmcnt(36)                                        // 000000009A40: BF8C8F74
	v_mfma_i32_16x16x32_i8 v[160:163], a[64:65], v[224:225], v[160:163]// 000000009A44: D3D700A0 0E83C140
	buffer_load_dwordx4 a[192:195], v38, s[92:95], 0 offen     // 000000009A4C: E05C1000 8097C026
	v_mfma_i32_16x16x32_i8 v[160:163], a[66:67], v[226:227], v[160:163]// 000000009A54: D3D700A0 0E83C542
	v_mfma_i32_16x16x32_i8 v[160:163], a[68:69], v[228:229], v[160:163]// 000000009A5C: D3D700A0 0E83C944
	v_mfma_i32_16x16x32_i8 v[160:163], a[70:71], v[230:231], v[160:163]// 000000009A64: D3D700A0 0E83CD46
	v_mfma_i32_16x16x32_i8 v[160:163], a[72:73], v[232:233], v[160:163]// 000000009A6C: D3D700A0 0E83D148
	buffer_load_dwordx4 a[196:199], v38, s[92:95], 0 offen offset:1024// 000000009A74: E05C1400 8097C426
	v_mfma_i32_16x16x32_i8 v[160:163], a[74:75], v[234:235], v[160:163]// 000000009A7C: D3D700A0 0E83D54A
	v_mfma_i32_16x16x32_i8 v[160:163], a[76:77], v[236:237], v[160:163]// 000000009A84: D3D700A0 0E83D94C
	v_mfma_i32_16x16x32_i8 v[160:163], a[78:79], v[238:239], v[160:163]// 000000009A8C: D3D700A0 0E83DD4E
	v_mfma_i32_16x16x32_i8 v[164:167], a[64:65], v[240:241], v[164:167]// 000000009A94: D3D700A4 0E93E140
	buffer_load_dwordx4 a[200:203], v38, s[92:95], 0 offen offset:2048// 000000009A9C: E05C1800 8097C826
	v_mfma_i32_16x16x32_i8 v[164:167], a[66:67], v[242:243], v[164:167]// 000000009AA4: D3D700A4 0E93E542
	v_mfma_i32_16x16x32_i8 v[164:167], a[68:69], v[244:245], v[164:167]// 000000009AAC: D3D700A4 0E93E944
	v_mfma_i32_16x16x32_i8 v[164:167], a[70:71], v[246:247], v[164:167]// 000000009AB4: D3D700A4 0E93ED46
	v_mfma_i32_16x16x32_i8 v[164:167], a[72:73], v[248:249], v[164:167]// 000000009ABC: D3D700A4 0E93F148
	buffer_load_dwordx4 a[204:207], v38, s[92:95], 0 offen offset:3072// 000000009AC4: E05C1C00 8097CC26
	v_mfma_i32_16x16x32_i8 v[164:167], a[74:75], v[250:251], v[164:167]// 000000009ACC: D3D700A4 0E93F54A
	v_mfma_i32_16x16x32_i8 v[164:167], a[76:77], v[252:253], v[164:167]// 000000009AD4: D3D700A4 0E93F94C
	v_mfma_i32_16x16x32_i8 v[164:167], a[78:79], v[254:255], v[164:167]// 000000009ADC: D3D700A4 0E93FD4E
	s_waitcnt vmcnt(36)                                        // 000000009AE4: BF8C8F74
	v_mfma_i32_16x16x32_i8 v[168:171], a[80:81], v[224:225], v[168:171]// 000000009AE8: D3D700A8 0EA3C150
	buffer_load_dwordx4 a[208:211], v39, s[92:95], 0 offen     // 000000009AF0: E05C1000 8097D027
	v_mfma_i32_16x16x32_i8 v[168:171], a[82:83], v[226:227], v[168:171]// 000000009AF8: D3D700A8 0EA3C552
	v_mfma_i32_16x16x32_i8 v[168:171], a[84:85], v[228:229], v[168:171]// 000000009B00: D3D700A8 0EA3C954
	v_mfma_i32_16x16x32_i8 v[168:171], a[86:87], v[230:231], v[168:171]// 000000009B08: D3D700A8 0EA3CD56
	v_mfma_i32_16x16x32_i8 v[168:171], a[88:89], v[232:233], v[168:171]// 000000009B10: D3D700A8 0EA3D158
	buffer_load_dwordx4 a[212:215], v39, s[92:95], 0 offen offset:1024// 000000009B18: E05C1400 8097D427
	v_mfma_i32_16x16x32_i8 v[168:171], a[90:91], v[234:235], v[168:171]// 000000009B20: D3D700A8 0EA3D55A
	v_mfma_i32_16x16x32_i8 v[168:171], a[92:93], v[236:237], v[168:171]// 000000009B28: D3D700A8 0EA3D95C
	v_mfma_i32_16x16x32_i8 v[168:171], a[94:95], v[238:239], v[168:171]// 000000009B30: D3D700A8 0EA3DD5E
	v_mfma_i32_16x16x32_i8 v[172:175], a[80:81], v[240:241], v[172:175]// 000000009B38: D3D700AC 0EB3E150
	buffer_load_dwordx4 a[216:219], v39, s[92:95], 0 offen offset:2048// 000000009B40: E05C1800 8097D827
	v_mfma_i32_16x16x32_i8 v[172:175], a[82:83], v[242:243], v[172:175]// 000000009B48: D3D700AC 0EB3E552
	v_mfma_i32_16x16x32_i8 v[172:175], a[84:85], v[244:245], v[172:175]// 000000009B50: D3D700AC 0EB3E954
	v_mfma_i32_16x16x32_i8 v[172:175], a[86:87], v[246:247], v[172:175]// 000000009B58: D3D700AC 0EB3ED56
	v_mfma_i32_16x16x32_i8 v[172:175], a[88:89], v[248:249], v[172:175]// 000000009B60: D3D700AC 0EB3F158
	buffer_load_dwordx4 a[220:223], v39, s[92:95], 0 offen offset:3072// 000000009B68: E05C1C00 8097DC27
	v_mfma_i32_16x16x32_i8 v[172:175], a[90:91], v[250:251], v[172:175]// 000000009B70: D3D700AC 0EB3F55A
	v_mfma_i32_16x16x32_i8 v[172:175], a[92:93], v[252:253], v[172:175]// 000000009B78: D3D700AC 0EB3F95C
	v_mfma_i32_16x16x32_i8 v[172:175], a[94:95], v[254:255], v[172:175]// 000000009B80: D3D700AC 0EB3FD5E
	s_waitcnt vmcnt(36)                                        // 000000009B88: BF8C8F74
	v_mfma_i32_16x16x32_i8 v[176:179], a[96:97], v[224:225], v[176:179]// 000000009B8C: D3D700B0 0EC3C160
	buffer_load_dwordx4 a[224:227], v40, s[92:95], 0 offen     // 000000009B94: E05C1000 8097E028
	v_mfma_i32_16x16x32_i8 v[176:179], a[98:99], v[226:227], v[176:179]// 000000009B9C: D3D700B0 0EC3C562
	v_mfma_i32_16x16x32_i8 v[176:179], a[100:101], v[228:229], v[176:179]// 000000009BA4: D3D700B0 0EC3C964
	v_mfma_i32_16x16x32_i8 v[176:179], a[102:103], v[230:231], v[176:179]// 000000009BAC: D3D700B0 0EC3CD66
	v_mfma_i32_16x16x32_i8 v[176:179], a[104:105], v[232:233], v[176:179]// 000000009BB4: D3D700B0 0EC3D168
	buffer_load_dwordx4 a[228:231], v40, s[92:95], 0 offen offset:1024// 000000009BBC: E05C1400 8097E428
	v_mfma_i32_16x16x32_i8 v[176:179], a[106:107], v[234:235], v[176:179]// 000000009BC4: D3D700B0 0EC3D56A
	v_mfma_i32_16x16x32_i8 v[176:179], a[108:109], v[236:237], v[176:179]// 000000009BCC: D3D700B0 0EC3D96C
	v_mfma_i32_16x16x32_i8 v[176:179], a[110:111], v[238:239], v[176:179]// 000000009BD4: D3D700B0 0EC3DD6E
	v_mfma_i32_16x16x32_i8 v[180:183], a[96:97], v[240:241], v[180:183]// 000000009BDC: D3D700B4 0ED3E160
	buffer_load_dwordx4 a[232:235], v40, s[92:95], 0 offen offset:2048// 000000009BE4: E05C1800 8097E828
	v_mfma_i32_16x16x32_i8 v[180:183], a[98:99], v[242:243], v[180:183]// 000000009BEC: D3D700B4 0ED3E562
	v_mfma_i32_16x16x32_i8 v[180:183], a[100:101], v[244:245], v[180:183]// 000000009BF4: D3D700B4 0ED3E964
	v_mfma_i32_16x16x32_i8 v[180:183], a[102:103], v[246:247], v[180:183]// 000000009BFC: D3D700B4 0ED3ED66
	v_mfma_i32_16x16x32_i8 v[180:183], a[104:105], v[248:249], v[180:183]// 000000009C04: D3D700B4 0ED3F168
	buffer_load_dwordx4 a[236:239], v40, s[92:95], 0 offen offset:3072// 000000009C0C: E05C1C00 8097EC28
	v_mfma_i32_16x16x32_i8 v[180:183], a[106:107], v[250:251], v[180:183]// 000000009C14: D3D700B4 0ED3F56A
	v_mfma_i32_16x16x32_i8 v[180:183], a[108:109], v[252:253], v[180:183]// 000000009C1C: D3D700B4 0ED3F96C
	v_mfma_i32_16x16x32_i8 v[180:183], a[110:111], v[254:255], v[180:183]// 000000009C24: D3D700B4 0ED3FD6E
	s_waitcnt vmcnt(36)                                        // 000000009C2C: BF8C8F74
	v_mfma_i32_16x16x32_i8 v[184:187], a[112:113], v[224:225], v[184:187]// 000000009C30: D3D700B8 0EE3C170
	buffer_load_dwordx4 a[240:243], v41, s[92:95], 0 offen     // 000000009C38: E05C1000 8097F029
	v_mfma_i32_16x16x32_i8 v[184:187], a[114:115], v[226:227], v[184:187]// 000000009C40: D3D700B8 0EE3C572
	v_mfma_i32_16x16x32_i8 v[184:187], a[116:117], v[228:229], v[184:187]// 000000009C48: D3D700B8 0EE3C974
	v_mfma_i32_16x16x32_i8 v[184:187], a[118:119], v[230:231], v[184:187]// 000000009C50: D3D700B8 0EE3CD76
	v_mfma_i32_16x16x32_i8 v[184:187], a[120:121], v[232:233], v[184:187]// 000000009C58: D3D700B8 0EE3D178
	buffer_load_dwordx4 a[244:247], v41, s[92:95], 0 offen offset:1024// 000000009C60: E05C1400 8097F429
	v_mfma_i32_16x16x32_i8 v[184:187], a[122:123], v[234:235], v[184:187]// 000000009C68: D3D700B8 0EE3D57A
	v_mfma_i32_16x16x32_i8 v[184:187], a[124:125], v[236:237], v[184:187]// 000000009C70: D3D700B8 0EE3D97C
	v_mfma_i32_16x16x32_i8 v[184:187], a[126:127], v[238:239], v[184:187]// 000000009C78: D3D700B8 0EE3DD7E
	v_mfma_i32_16x16x32_i8 v[188:191], a[112:113], v[240:241], v[188:191]// 000000009C80: D3D700BC 0EF3E170
	buffer_load_dwordx4 a[248:251], v41, s[92:95], 0 offen offset:2048// 000000009C88: E05C1800 8097F829
	v_mfma_i32_16x16x32_i8 v[188:191], a[114:115], v[242:243], v[188:191]// 000000009C90: D3D700BC 0EF3E572
	v_mfma_i32_16x16x32_i8 v[188:191], a[116:117], v[244:245], v[188:191]// 000000009C98: D3D700BC 0EF3E974
	v_mfma_i32_16x16x32_i8 v[188:191], a[118:119], v[246:247], v[188:191]// 000000009CA0: D3D700BC 0EF3ED76
	v_mfma_i32_16x16x32_i8 v[188:191], a[120:121], v[248:249], v[188:191]// 000000009CA8: D3D700BC 0EF3F178
	buffer_load_dwordx4 a[252:255], v41, s[92:95], 0 offen offset:3072// 000000009CB0: E05C1C00 8097FC29
	v_mfma_i32_16x16x32_i8 v[188:191], a[122:123], v[250:251], v[188:191]// 000000009CB8: D3D700BC 0EF3F57A
	v_mfma_i32_16x16x32_i8 v[188:191], a[124:125], v[252:253], v[188:191]// 000000009CC0: D3D700BC 0EF3F97C
	v_mfma_i32_16x16x32_i8 v[188:191], a[126:127], v[254:255], v[188:191]// 000000009CC8: D3D700BC 0EF3FD7E
	s_waitcnt vmcnt(24)                                        // 000000009CD0: BF8C4F78
	s_barrier                                                  // 000000009CD4: BF8A0000
	v_mfma_i32_16x16x32_i8 v[64:67], a[128:129], v[224:225], v[64:67]// 000000009CD8: D3D70040 0D03C180
	buffer_load_dwordx4 a[0:3], v34, s[24:27], 0 offen         // 000000009CE0: E05C1000 80860022
	v_mfma_i32_16x16x32_i8 v[64:67], a[130:131], v[226:227], v[64:67]// 000000009CE8: D3D70040 0D03C582
	v_mfma_i32_16x16x32_i8 v[64:67], a[132:133], v[228:229], v[64:67]// 000000009CF0: D3D70040 0D03C984
	v_mfma_i32_16x16x32_i8 v[64:67], a[134:135], v[230:231], v[64:67]// 000000009CF8: D3D70040 0D03CD86
	v_mfma_i32_16x16x32_i8 v[64:67], a[136:137], v[232:233], v[64:67]// 000000009D00: D3D70040 0D03D188
	buffer_load_dwordx4 a[4:7], v34, s[24:27], 0 offen offset:1024// 000000009D08: E05C1400 80860422
	v_mfma_i32_16x16x32_i8 v[64:67], a[138:139], v[234:235], v[64:67]// 000000009D10: D3D70040 0D03D58A
	v_mfma_i32_16x16x32_i8 v[64:67], a[140:141], v[236:237], v[64:67]// 000000009D18: D3D70040 0D03D98C
	v_mfma_i32_16x16x32_i8 v[64:67], a[142:143], v[238:239], v[64:67]// 000000009D20: D3D70040 0D03DD8E
	v_mfma_i32_16x16x32_i8 v[68:71], a[128:129], v[240:241], v[68:71]// 000000009D28: D3D70044 0D13E180
	buffer_load_dwordx4 a[8:11], v34, s[24:27], 0 offen offset:2048// 000000009D30: E05C1800 80860822
	v_mfma_i32_16x16x32_i8 v[68:71], a[130:131], v[242:243], v[68:71]// 000000009D38: D3D70044 0D13E582
	v_mfma_i32_16x16x32_i8 v[68:71], a[132:133], v[244:245], v[68:71]// 000000009D40: D3D70044 0D13E984
	v_mfma_i32_16x16x32_i8 v[68:71], a[134:135], v[246:247], v[68:71]// 000000009D48: D3D70044 0D13ED86
	v_mfma_i32_16x16x32_i8 v[68:71], a[136:137], v[248:249], v[68:71]// 000000009D50: D3D70044 0D13F188
	buffer_load_dwordx4 a[12:15], v34, s[24:27], 0 offen offset:3072// 000000009D58: E05C1C00 80860C22
	v_mfma_i32_16x16x32_i8 v[68:71], a[138:139], v[250:251], v[68:71]// 000000009D60: D3D70044 0D13F58A
	v_mfma_i32_16x16x32_i8 v[68:71], a[140:141], v[252:253], v[68:71]// 000000009D68: D3D70044 0D13F98C
	v_mfma_i32_16x16x32_i8 v[68:71], a[142:143], v[254:255], v[68:71]// 000000009D70: D3D70044 0D13FD8E
	v_mfma_i32_16x16x32_i8 v[72:75], a[144:145], v[224:225], v[72:75]// 000000009D78: D3D70048 0D23C190
	buffer_load_dwordx4 a[16:19], v35, s[24:27], 0 offen       // 000000009D80: E05C1000 80861023
	v_mfma_i32_16x16x32_i8 v[72:75], a[146:147], v[226:227], v[72:75]// 000000009D88: D3D70048 0D23C592
	v_mfma_i32_16x16x32_i8 v[72:75], a[148:149], v[228:229], v[72:75]// 000000009D90: D3D70048 0D23C994
	v_mfma_i32_16x16x32_i8 v[72:75], a[150:151], v[230:231], v[72:75]// 000000009D98: D3D70048 0D23CD96
	v_mfma_i32_16x16x32_i8 v[72:75], a[152:153], v[232:233], v[72:75]// 000000009DA0: D3D70048 0D23D198
	buffer_load_dwordx4 a[20:23], v35, s[24:27], 0 offen offset:1024// 000000009DA8: E05C1400 80861423
	v_mfma_i32_16x16x32_i8 v[72:75], a[154:155], v[234:235], v[72:75]// 000000009DB0: D3D70048 0D23D59A
	v_mfma_i32_16x16x32_i8 v[72:75], a[156:157], v[236:237], v[72:75]// 000000009DB8: D3D70048 0D23D99C
	v_mfma_i32_16x16x32_i8 v[72:75], a[158:159], v[238:239], v[72:75]// 000000009DC0: D3D70048 0D23DD9E
	v_mfma_i32_16x16x32_i8 v[76:79], a[144:145], v[240:241], v[76:79]// 000000009DC8: D3D7004C 0D33E190
	buffer_load_dwordx4 a[24:27], v35, s[24:27], 0 offen offset:2048// 000000009DD0: E05C1800 80861823
	v_mfma_i32_16x16x32_i8 v[76:79], a[146:147], v[242:243], v[76:79]// 000000009DD8: D3D7004C 0D33E592
	v_mfma_i32_16x16x32_i8 v[76:79], a[148:149], v[244:245], v[76:79]// 000000009DE0: D3D7004C 0D33E994
	v_mfma_i32_16x16x32_i8 v[76:79], a[150:151], v[246:247], v[76:79]// 000000009DE8: D3D7004C 0D33ED96
	v_mfma_i32_16x16x32_i8 v[76:79], a[152:153], v[248:249], v[76:79]// 000000009DF0: D3D7004C 0D33F198
	buffer_load_dwordx4 a[28:31], v35, s[24:27], 0 offen offset:3072// 000000009DF8: E05C1C00 80861C23
	v_mfma_i32_16x16x32_i8 v[76:79], a[154:155], v[250:251], v[76:79]// 000000009E00: D3D7004C 0D33F59A
	v_mfma_i32_16x16x32_i8 v[76:79], a[156:157], v[252:253], v[76:79]// 000000009E08: D3D7004C 0D33F99C
	v_mfma_i32_16x16x32_i8 v[76:79], a[158:159], v[254:255], v[76:79]// 000000009E10: D3D7004C 0D33FD9E
	s_waitcnt vmcnt(28)                                        // 000000009E18: BF8C4F7C
	v_mfma_i32_16x16x32_i8 v[80:83], a[160:161], v[224:225], v[80:83]// 000000009E1C: D3D70050 0D43C1A0
	buffer_load_dwordx4 a[32:35], v36, s[24:27], 0 offen       // 000000009E24: E05C1000 80862024
	v_mfma_i32_16x16x32_i8 v[80:83], a[162:163], v[226:227], v[80:83]// 000000009E2C: D3D70050 0D43C5A2
	v_mfma_i32_16x16x32_i8 v[80:83], a[164:165], v[228:229], v[80:83]// 000000009E34: D3D70050 0D43C9A4
	ds_read_b128 v[192:195], v2                                // 000000009E3C: D9FE0000 C0000002
	v_mfma_i32_16x16x32_i8 v[80:83], a[166:167], v[230:231], v[80:83]// 000000009E44: D3D70050 0D43CDA6
	v_mfma_i32_16x16x32_i8 v[80:83], a[168:169], v[232:233], v[80:83]// 000000009E4C: D3D70050 0D43D1A8
	buffer_load_dwordx4 a[36:39], v36, s[24:27], 0 offen offset:1024// 000000009E54: E05C1400 80862424
	v_mfma_i32_16x16x32_i8 v[80:83], a[170:171], v[234:235], v[80:83]// 000000009E5C: D3D70050 0D43D5AA
	v_mfma_i32_16x16x32_i8 v[80:83], a[172:173], v[236:237], v[80:83]// 000000009E64: D3D70050 0D43D9AC
	ds_read_b128 v[196:199], v2 offset:64                      // 000000009E6C: D9FE0040 C4000002
	v_mfma_i32_16x16x32_i8 v[80:83], a[174:175], v[238:239], v[80:83]// 000000009E74: D3D70050 0D43DDAE
	v_mfma_i32_16x16x32_i8 v[84:87], a[160:161], v[240:241], v[84:87]// 000000009E7C: D3D70054 0D53E1A0
	buffer_load_dwordx4 a[40:43], v36, s[24:27], 0 offen offset:2048// 000000009E84: E05C1800 80862824
	v_mfma_i32_16x16x32_i8 v[84:87], a[162:163], v[242:243], v[84:87]// 000000009E8C: D3D70054 0D53E5A2
	v_mfma_i32_16x16x32_i8 v[84:87], a[164:165], v[244:245], v[84:87]// 000000009E94: D3D70054 0D53E9A4
	ds_read_b128 v[200:203], v2 offset:128                     // 000000009E9C: D9FE0080 C8000002
	v_mfma_i32_16x16x32_i8 v[84:87], a[166:167], v[246:247], v[84:87]// 000000009EA4: D3D70054 0D53EDA6
	v_mfma_i32_16x16x32_i8 v[84:87], a[168:169], v[248:249], v[84:87]// 000000009EAC: D3D70054 0D53F1A8
	buffer_load_dwordx4 a[44:47], v36, s[24:27], 0 offen offset:3072// 000000009EB4: E05C1C00 80862C24
	v_mfma_i32_16x16x32_i8 v[84:87], a[170:171], v[250:251], v[84:87]// 000000009EBC: D3D70054 0D53F5AA
	v_mfma_i32_16x16x32_i8 v[84:87], a[172:173], v[252:253], v[84:87]// 000000009EC4: D3D70054 0D53F9AC
	ds_read_b128 v[204:207], v2 offset:192                     // 000000009ECC: D9FE00C0 CC000002
	v_mfma_i32_16x16x32_i8 v[84:87], a[174:175], v[254:255], v[84:87]// 000000009ED4: D3D70054 0D53FDAE
	s_waitcnt vmcnt(28)                                        // 000000009EDC: BF8C4F7C
	v_mfma_i32_16x16x32_i8 v[88:91], a[176:177], v[224:225], v[88:91]// 000000009EE0: D3D70058 0D63C1B0
	buffer_load_dwordx4 a[48:51], v37, s[24:27], 0 offen       // 000000009EE8: E05C1000 80863025
	v_mfma_i32_16x16x32_i8 v[88:91], a[178:179], v[226:227], v[88:91]// 000000009EF0: D3D70058 0D63C5B2
	v_mfma_i32_16x16x32_i8 v[88:91], a[180:181], v[228:229], v[88:91]// 000000009EF8: D3D70058 0D63C9B4
	ds_read_b128 v[208:211], v2 offset:1024                    // 000000009F00: D9FE0400 D0000002
	v_mfma_i32_16x16x32_i8 v[88:91], a[182:183], v[230:231], v[88:91]// 000000009F08: D3D70058 0D63CDB6
	v_mfma_i32_16x16x32_i8 v[88:91], a[184:185], v[232:233], v[88:91]// 000000009F10: D3D70058 0D63D1B8
	buffer_load_dwordx4 a[52:55], v37, s[24:27], 0 offen offset:1024// 000000009F18: E05C1400 80863425
	v_mfma_i32_16x16x32_i8 v[88:91], a[186:187], v[234:235], v[88:91]// 000000009F20: D3D70058 0D63D5BA
	v_mfma_i32_16x16x32_i8 v[88:91], a[188:189], v[236:237], v[88:91]// 000000009F28: D3D70058 0D63D9BC
	ds_read_b128 v[212:215], v2 offset:1088                    // 000000009F30: D9FE0440 D4000002
	v_mfma_i32_16x16x32_i8 v[88:91], a[190:191], v[238:239], v[88:91]// 000000009F38: D3D70058 0D63DDBE
	v_mfma_i32_16x16x32_i8 v[92:95], a[176:177], v[240:241], v[92:95]// 000000009F40: D3D7005C 0D73E1B0
	buffer_load_dwordx4 a[56:59], v37, s[24:27], 0 offen offset:2048// 000000009F48: E05C1800 80863825
	v_mfma_i32_16x16x32_i8 v[92:95], a[178:179], v[242:243], v[92:95]// 000000009F50: D3D7005C 0D73E5B2
	v_mfma_i32_16x16x32_i8 v[92:95], a[180:181], v[244:245], v[92:95]// 000000009F58: D3D7005C 0D73E9B4
	ds_read_b128 v[216:219], v2 offset:1152                    // 000000009F60: D9FE0480 D8000002
	v_mfma_i32_16x16x32_i8 v[92:95], a[182:183], v[246:247], v[92:95]// 000000009F68: D3D7005C 0D73EDB6
	v_mfma_i32_16x16x32_i8 v[92:95], a[184:185], v[248:249], v[92:95]// 000000009F70: D3D7005C 0D73F1B8
	buffer_load_dwordx4 a[60:63], v37, s[24:27], 0 offen offset:3072// 000000009F78: E05C1C00 80863C25
	v_mfma_i32_16x16x32_i8 v[92:95], a[186:187], v[250:251], v[92:95]// 000000009F80: D3D7005C 0D73F5BA
	v_mfma_i32_16x16x32_i8 v[92:95], a[188:189], v[252:253], v[92:95]// 000000009F88: D3D7005C 0D73F9BC
	ds_read_b128 v[220:223], v2 offset:1216                    // 000000009F90: D9FE04C0 DC000002
	v_mfma_i32_16x16x32_i8 v[92:95], a[190:191], v[254:255], v[92:95]// 000000009F98: D3D7005C 0D73FDBE
	s_waitcnt vmcnt(28)                                        // 000000009FA0: BF8C4F7C
	v_mfma_i32_16x16x32_i8 v[96:99], a[192:193], v[224:225], v[96:99]// 000000009FA4: D3D70060 0D83C1C0
	buffer_load_dwordx4 a[64:67], v38, s[24:27], 0 offen       // 000000009FAC: E05C1000 80864026
	v_mfma_i32_16x16x32_i8 v[96:99], a[194:195], v[226:227], v[96:99]// 000000009FB4: D3D70060 0D83C5C2
	v_mfma_i32_16x16x32_i8 v[96:99], a[196:197], v[228:229], v[96:99]// 000000009FBC: D3D70060 0D83C9C4
	v_mfma_i32_16x16x32_i8 v[96:99], a[198:199], v[230:231], v[96:99]// 000000009FC4: D3D70060 0D83CDC6
	v_mfma_i32_16x16x32_i8 v[96:99], a[200:201], v[232:233], v[96:99]// 000000009FCC: D3D70060 0D83D1C8
	buffer_load_dwordx4 a[68:71], v38, s[24:27], 0 offen offset:1024// 000000009FD4: E05C1400 80864426
	v_mfma_i32_16x16x32_i8 v[96:99], a[202:203], v[234:235], v[96:99]// 000000009FDC: D3D70060 0D83D5CA
	v_mfma_i32_16x16x32_i8 v[96:99], a[204:205], v[236:237], v[96:99]// 000000009FE4: D3D70060 0D83D9CC
	v_mfma_i32_16x16x32_i8 v[96:99], a[206:207], v[238:239], v[96:99]// 000000009FEC: D3D70060 0D83DDCE
	v_mfma_i32_16x16x32_i8 v[100:103], a[192:193], v[240:241], v[100:103]// 000000009FF4: D3D70064 0D93E1C0
	buffer_load_dwordx4 a[72:75], v38, s[24:27], 0 offen offset:2048// 000000009FFC: E05C1800 80864826
	v_mfma_i32_16x16x32_i8 v[100:103], a[194:195], v[242:243], v[100:103]// 00000000A004: D3D70064 0D93E5C2
	v_mfma_i32_16x16x32_i8 v[100:103], a[196:197], v[244:245], v[100:103]// 00000000A00C: D3D70064 0D93E9C4
	v_mfma_i32_16x16x32_i8 v[100:103], a[198:199], v[246:247], v[100:103]// 00000000A014: D3D70064 0D93EDC6
	v_mfma_i32_16x16x32_i8 v[100:103], a[200:201], v[248:249], v[100:103]// 00000000A01C: D3D70064 0D93F1C8
	buffer_load_dwordx4 a[76:79], v38, s[24:27], 0 offen offset:3072// 00000000A024: E05C1C00 80864C26
	v_mfma_i32_16x16x32_i8 v[100:103], a[202:203], v[250:251], v[100:103]// 00000000A02C: D3D70064 0D93F5CA
	v_mfma_i32_16x16x32_i8 v[100:103], a[204:205], v[252:253], v[100:103]// 00000000A034: D3D70064 0D93F9CC
	v_mfma_i32_16x16x32_i8 v[100:103], a[206:207], v[254:255], v[100:103]// 00000000A03C: D3D70064 0D93FDCE
	s_waitcnt vmcnt(28)                                        // 00000000A044: BF8C4F7C
	v_mfma_i32_16x16x32_i8 v[104:107], a[208:209], v[224:225], v[104:107]// 00000000A048: D3D70068 0DA3C1D0
	buffer_load_dwordx4 a[80:83], v39, s[24:27], 0 offen       // 00000000A050: E05C1000 80865027
	v_mfma_i32_16x16x32_i8 v[104:107], a[210:211], v[226:227], v[104:107]// 00000000A058: D3D70068 0DA3C5D2
	v_mfma_i32_16x16x32_i8 v[104:107], a[212:213], v[228:229], v[104:107]// 00000000A060: D3D70068 0DA3C9D4
	v_mfma_i32_16x16x32_i8 v[104:107], a[214:215], v[230:231], v[104:107]// 00000000A068: D3D70068 0DA3CDD6
	v_mfma_i32_16x16x32_i8 v[104:107], a[216:217], v[232:233], v[104:107]// 00000000A070: D3D70068 0DA3D1D8
	buffer_load_dwordx4 a[84:87], v39, s[24:27], 0 offen offset:1024// 00000000A078: E05C1400 80865427
	v_mfma_i32_16x16x32_i8 v[104:107], a[218:219], v[234:235], v[104:107]// 00000000A080: D3D70068 0DA3D5DA
	v_mfma_i32_16x16x32_i8 v[104:107], a[220:221], v[236:237], v[104:107]// 00000000A088: D3D70068 0DA3D9DC
	v_mfma_i32_16x16x32_i8 v[104:107], a[222:223], v[238:239], v[104:107]// 00000000A090: D3D70068 0DA3DDDE
	v_mfma_i32_16x16x32_i8 v[108:111], a[208:209], v[240:241], v[108:111]// 00000000A098: D3D7006C 0DB3E1D0
	buffer_load_dwordx4 a[88:91], v39, s[24:27], 0 offen offset:2048// 00000000A0A0: E05C1800 80865827
	v_mfma_i32_16x16x32_i8 v[108:111], a[210:211], v[242:243], v[108:111]// 00000000A0A8: D3D7006C 0DB3E5D2
	v_mfma_i32_16x16x32_i8 v[108:111], a[212:213], v[244:245], v[108:111]// 00000000A0B0: D3D7006C 0DB3E9D4
	v_mfma_i32_16x16x32_i8 v[108:111], a[214:215], v[246:247], v[108:111]// 00000000A0B8: D3D7006C 0DB3EDD6
	v_mfma_i32_16x16x32_i8 v[108:111], a[216:217], v[248:249], v[108:111]// 00000000A0C0: D3D7006C 0DB3F1D8
	buffer_load_dwordx4 a[92:95], v39, s[24:27], 0 offen offset:3072// 00000000A0C8: E05C1C00 80865C27
	v_mfma_i32_16x16x32_i8 v[108:111], a[218:219], v[250:251], v[108:111]// 00000000A0D0: D3D7006C 0DB3F5DA
	v_mfma_i32_16x16x32_i8 v[108:111], a[220:221], v[252:253], v[108:111]// 00000000A0D8: D3D7006C 0DB3F9DC
	v_mfma_i32_16x16x32_i8 v[108:111], a[222:223], v[254:255], v[108:111]// 00000000A0E0: D3D7006C 0DB3FDDE
	s_waitcnt vmcnt(28)                                        // 00000000A0E8: BF8C4F7C
	v_mfma_i32_16x16x32_i8 v[112:115], a[224:225], v[224:225], v[112:115]// 00000000A0EC: D3D70070 0DC3C1E0
	buffer_load_dwordx4 a[96:99], v40, s[24:27], 0 offen       // 00000000A0F4: E05C1000 80866028
	v_mfma_i32_16x16x32_i8 v[112:115], a[226:227], v[226:227], v[112:115]// 00000000A0FC: D3D70070 0DC3C5E2
	v_mfma_i32_16x16x32_i8 v[112:115], a[228:229], v[228:229], v[112:115]// 00000000A104: D3D70070 0DC3C9E4
	v_mfma_i32_16x16x32_i8 v[112:115], a[230:231], v[230:231], v[112:115]// 00000000A10C: D3D70070 0DC3CDE6
	v_mfma_i32_16x16x32_i8 v[112:115], a[232:233], v[232:233], v[112:115]// 00000000A114: D3D70070 0DC3D1E8
	buffer_load_dwordx4 a[100:103], v40, s[24:27], 0 offen offset:1024// 00000000A11C: E05C1400 80866428
	v_mfma_i32_16x16x32_i8 v[112:115], a[234:235], v[234:235], v[112:115]// 00000000A124: D3D70070 0DC3D5EA
	v_mfma_i32_16x16x32_i8 v[112:115], a[236:237], v[236:237], v[112:115]// 00000000A12C: D3D70070 0DC3D9EC
	v_mfma_i32_16x16x32_i8 v[112:115], a[238:239], v[238:239], v[112:115]// 00000000A134: D3D70070 0DC3DDEE
	v_mfma_i32_16x16x32_i8 v[116:119], a[224:225], v[240:241], v[116:119]// 00000000A13C: D3D70074 0DD3E1E0
	buffer_load_dwordx4 a[104:107], v40, s[24:27], 0 offen offset:2048// 00000000A144: E05C1800 80866828
	v_mfma_i32_16x16x32_i8 v[116:119], a[226:227], v[242:243], v[116:119]// 00000000A14C: D3D70074 0DD3E5E2
	v_mfma_i32_16x16x32_i8 v[116:119], a[228:229], v[244:245], v[116:119]// 00000000A154: D3D70074 0DD3E9E4
	v_mfma_i32_16x16x32_i8 v[116:119], a[230:231], v[246:247], v[116:119]// 00000000A15C: D3D70074 0DD3EDE6
	v_mfma_i32_16x16x32_i8 v[116:119], a[232:233], v[248:249], v[116:119]// 00000000A164: D3D70074 0DD3F1E8
	buffer_load_dwordx4 a[108:111], v40, s[24:27], 0 offen offset:3072// 00000000A16C: E05C1C00 80866C28
	v_mfma_i32_16x16x32_i8 v[116:119], a[234:235], v[250:251], v[116:119]// 00000000A174: D3D70074 0DD3F5EA
	v_mfma_i32_16x16x32_i8 v[116:119], a[236:237], v[252:253], v[116:119]// 00000000A17C: D3D70074 0DD3F9EC
	v_mfma_i32_16x16x32_i8 v[116:119], a[238:239], v[254:255], v[116:119]// 00000000A184: D3D70074 0DD3FDEE
	s_waitcnt vmcnt(28)                                        // 00000000A18C: BF8C4F7C
	v_mfma_i32_16x16x32_i8 v[120:123], a[240:241], v[224:225], v[120:123]// 00000000A190: D3D70078 0DE3C1F0
	buffer_load_dwordx4 a[112:115], v41, s[24:27], 0 offen     // 00000000A198: E05C1000 80867029
	v_mfma_i32_16x16x32_i8 v[120:123], a[242:243], v[226:227], v[120:123]// 00000000A1A0: D3D70078 0DE3C5F2
	v_mfma_i32_16x16x32_i8 v[120:123], a[244:245], v[228:229], v[120:123]// 00000000A1A8: D3D70078 0DE3C9F4
	v_mfma_i32_16x16x32_i8 v[120:123], a[246:247], v[230:231], v[120:123]// 00000000A1B0: D3D70078 0DE3CDF6
	v_mfma_i32_16x16x32_i8 v[120:123], a[248:249], v[232:233], v[120:123]// 00000000A1B8: D3D70078 0DE3D1F8
	buffer_load_dwordx4 a[116:119], v41, s[24:27], 0 offen offset:1024// 00000000A1C0: E05C1400 80867429
	v_mfma_i32_16x16x32_i8 v[120:123], a[250:251], v[234:235], v[120:123]// 00000000A1C8: D3D70078 0DE3D5FA
	v_mfma_i32_16x16x32_i8 v[120:123], a[252:253], v[236:237], v[120:123]// 00000000A1D0: D3D70078 0DE3D9FC
	v_mfma_i32_16x16x32_i8 v[120:123], a[254:255], v[238:239], v[120:123]// 00000000A1D8: D3D70078 0DE3DDFE
	v_mfma_i32_16x16x32_i8 v[124:127], a[240:241], v[240:241], v[124:127]// 00000000A1E0: D3D7007C 0DF3E1F0
	buffer_load_dwordx4 a[120:123], v41, s[24:27], 0 offen offset:2048// 00000000A1E8: E05C1800 80867829
	v_mfma_i32_16x16x32_i8 v[124:127], a[242:243], v[242:243], v[124:127]// 00000000A1F0: D3D7007C 0DF3E5F2
	v_mfma_i32_16x16x32_i8 v[124:127], a[244:245], v[244:245], v[124:127]// 00000000A1F8: D3D7007C 0DF3E9F4
	v_mfma_i32_16x16x32_i8 v[124:127], a[246:247], v[246:247], v[124:127]// 00000000A200: D3D7007C 0DF3EDF6
	v_mfma_i32_16x16x32_i8 v[124:127], a[248:249], v[248:249], v[124:127]// 00000000A208: D3D7007C 0DF3F1F8
	buffer_load_dwordx4 a[124:127], v41, s[24:27], 0 offen offset:3072// 00000000A210: E05C1C00 80867C29
	v_mfma_i32_16x16x32_i8 v[124:127], a[250:251], v[250:251], v[124:127]// 00000000A218: D3D7007C 0DF3F5FA
	v_mfma_i32_16x16x32_i8 v[124:127], a[252:253], v[252:253], v[124:127]// 00000000A220: D3D7007C 0DF3F9FC
	v_mfma_i32_16x16x32_i8 v[124:127], a[254:255], v[254:255], v[124:127]// 00000000A228: D3D7007C 0DF3FDFE
	s_add_u32 s60, 0x200, s80                                  // 00000000A230: 803C50FF 00000200
	s_cmp_lt_u32 s60, s81                                      // 00000000A238: BF0A513C
	s_cselect_b32 s57, s57, 0                                  // 00000000A23C: 85398039
	s_add_u32 s60, 0x200, s80                                  // 00000000A240: 803C50FF 00000200
	s_cmp_lt_u32 s60, s81                                      // 00000000A248: BF0A513C
	s_cselect_b32 s58, s58, 0                                  // 00000000A24C: 853A803A
	s_add_u32 s20, s57, s20                                    // 00000000A250: 80141439
	s_addc_u32 s21, 0, s21                                     // 00000000A254: 82151580
	s_add_u32 s24, s58, s24                                    // 00000000A258: 8018183A
	s_addc_u32 s25, 0, s25                                     // 00000000A25C: 82191980
	s_add_u32 s92, s90, s92                                    // 00000000A260: 805C5C5A
	s_addc_u32 s93, 0, s93                                     // 00000000A264: 825D5D80
	s_addk_i32 s80, 0x100                                      // 00000000A268: B7500100
	s_cmp_lt_i32 s80, s81                                      // 00000000A26C: BF045150
	s_cbranch_scc0 label_1D1E                                  // 00000000A270: BF840001
	s_branch label_177D                                        // 00000000A274: BF82FA5F

000000000000a278 <label_1D1E>:
	s_mov_b32 s36, -1                                          // 00000000A278: BEA400C1
	s_mov_b32 s37, -1                                          // 00000000A27C: BEA500C1
	s_mov_b64 s[60:61], 0                                      // 00000000A280: BEBC0180
	s_cmp_lt_u32 s82, s66                                      // 00000000A284: BF0A4252
	s_cselect_b64 s[20:21], s[36:37], s[60:61]                 // 00000000A288: 85943C24
	s_cmp_lt_u32 s83, s66                                      // 00000000A28C: BF0A4253
	s_cselect_b64 s[22:23], s[36:37], s[60:61]                 // 00000000A290: 85963C24
	s_cmp_lt_u32 s84, s66                                      // 00000000A294: BF0A4254
	s_cselect_b64 s[24:25], s[36:37], s[60:61]                 // 00000000A298: 85983C24
	s_cmp_lt_u32 s85, s66                                      // 00000000A29C: BF0A4255
	s_cselect_b64 s[26:27], s[36:37], s[60:61]                 // 00000000A2A0: 859A3C24
	s_cmp_lt_u32 s86, s66                                      // 00000000A2A4: BF0A4256
	s_cselect_b64 s[28:29], s[36:37], s[60:61]                 // 00000000A2A8: 859C3C24
	s_cmp_lt_u32 s87, s66                                      // 00000000A2AC: BF0A4257
	s_cselect_b64 s[30:31], s[36:37], s[60:61]                 // 00000000A2B0: 859E3C24
	s_cmp_lt_u32 s88, s66                                      // 00000000A2B4: BF0A4258
	s_cselect_b64 s[32:33], s[36:37], s[60:61]                 // 00000000A2B8: 85A03C24
	s_cmp_lt_u32 s89, s66                                      // 00000000A2BC: BF0A4259
	s_cselect_b64 s[34:35], s[36:37], s[60:61]                 // 00000000A2C0: 85A23C24
	v_cvt_f32_i32_e32 v128, v128                               // 00000000A2C4: 7F000B80
	v_cvt_f32_i32_e32 v129, v129                               // 00000000A2C8: 7F020B81
	v_cvt_f32_i32_e32 v130, v130                               // 00000000A2CC: 7F040B82
	v_cvt_f32_i32_e32 v131, v131                               // 00000000A2D0: 7F060B83
	v_mul_f32_e32 v128, v14, v128                              // 00000000A2D4: 0B01010E
	v_mul_f32_e32 v129, v14, v129                              // 00000000A2D8: 0B03030E
	v_mul_f32_e32 v130, v14, v130                              // 00000000A2DC: 0B05050E
	v_mul_f32_e32 v131, v14, v131                              // 00000000A2E0: 0B07070E
	v_mul_f32_dpp v128, v16, v128 row_newbcast:0 row_mask:0xf bank_mask:0xf// 00000000A2E4: 0B0100FA FF015010
	v_mul_f32_dpp v129, v16, v129 row_newbcast:1 row_mask:0xf bank_mask:0xf// 00000000A2EC: 0B0302FA FF015110
	v_mul_f32_dpp v130, v16, v130 row_newbcast:2 row_mask:0xf bank_mask:0xf// 00000000A2F4: 0B0504FA FF015210
	v_mul_f32_dpp v131, v16, v131 row_newbcast:3 row_mask:0xf bank_mask:0xf// 00000000A2FC: 0B0706FA FF015310
	v_cvt_f32_i32_e32 v132, v132                               // 00000000A304: 7F080B84
	v_cvt_f32_i32_e32 v133, v133                               // 00000000A308: 7F0A0B85
	v_cvt_f32_i32_e32 v134, v134                               // 00000000A30C: 7F0C0B86
	v_cvt_f32_i32_e32 v135, v135                               // 00000000A310: 7F0E0B87
	v_mul_f32_e32 v132, v15, v132                              // 00000000A314: 0B09090F
	v_mul_f32_e32 v133, v15, v133                              // 00000000A318: 0B0B0B0F
	v_mul_f32_e32 v134, v15, v134                              // 00000000A31C: 0B0D0D0F
	v_mul_f32_e32 v135, v15, v135                              // 00000000A320: 0B0F0F0F
	v_mul_f32_dpp v132, v16, v132 row_newbcast:0 row_mask:0xf bank_mask:0xf// 00000000A324: 0B0908FA FF015010
	v_mul_f32_dpp v133, v16, v133 row_newbcast:1 row_mask:0xf bank_mask:0xf// 00000000A32C: 0B0B0AFA FF015110
	v_mul_f32_dpp v134, v16, v134 row_newbcast:2 row_mask:0xf bank_mask:0xf// 00000000A334: 0B0D0CFA FF015210
	v_mul_f32_dpp v135, v16, v135 row_newbcast:3 row_mask:0xf bank_mask:0xf// 00000000A33C: 0B0F0EFA FF015310
	v_cvt_f32_i32_e32 v136, v136                               // 00000000A344: 7F100B88
	v_cvt_f32_i32_e32 v137, v137                               // 00000000A348: 7F120B89
	v_cvt_f32_i32_e32 v138, v138                               // 00000000A34C: 7F140B8A
	v_cvt_f32_i32_e32 v139, v139                               // 00000000A350: 7F160B8B
	v_mul_f32_e32 v136, v14, v136                              // 00000000A354: 0B11110E
	v_mul_f32_e32 v137, v14, v137                              // 00000000A358: 0B13130E
	v_mul_f32_e32 v138, v14, v138                              // 00000000A35C: 0B15150E
	v_mul_f32_e32 v139, v14, v139                              // 00000000A360: 0B17170E
	v_mul_f32_dpp v136, v16, v136 row_newbcast:4 row_mask:0xf bank_mask:0xf// 00000000A364: 0B1110FA FF015410
	v_mul_f32_dpp v137, v16, v137 row_newbcast:5 row_mask:0xf bank_mask:0xf// 00000000A36C: 0B1312FA FF015510
	v_mul_f32_dpp v138, v16, v138 row_newbcast:6 row_mask:0xf bank_mask:0xf// 00000000A374: 0B1514FA FF015610
	v_mul_f32_dpp v139, v16, v139 row_newbcast:7 row_mask:0xf bank_mask:0xf// 00000000A37C: 0B1716FA FF015710
	v_cvt_f32_i32_e32 v140, v140                               // 00000000A384: 7F180B8C
	v_cvt_f32_i32_e32 v141, v141                               // 00000000A388: 7F1A0B8D
	v_cvt_f32_i32_e32 v142, v142                               // 00000000A38C: 7F1C0B8E
	v_cvt_f32_i32_e32 v143, v143                               // 00000000A390: 7F1E0B8F
	v_mul_f32_e32 v140, v15, v140                              // 00000000A394: 0B19190F
	v_mul_f32_e32 v141, v15, v141                              // 00000000A398: 0B1B1B0F
	v_mul_f32_e32 v142, v15, v142                              // 00000000A39C: 0B1D1D0F
	v_mul_f32_e32 v143, v15, v143                              // 00000000A3A0: 0B1F1F0F
	v_mul_f32_dpp v140, v16, v140 row_newbcast:4 row_mask:0xf bank_mask:0xf// 00000000A3A4: 0B1918FA FF015410
	v_mul_f32_dpp v141, v16, v141 row_newbcast:5 row_mask:0xf bank_mask:0xf// 00000000A3AC: 0B1B1AFA FF015510
	v_mul_f32_dpp v142, v16, v142 row_newbcast:6 row_mask:0xf bank_mask:0xf// 00000000A3B4: 0B1D1CFA FF015610
	v_mul_f32_dpp v143, v16, v143 row_newbcast:7 row_mask:0xf bank_mask:0xf// 00000000A3BC: 0B1F1EFA FF015710
	v_cvt_f32_i32_e32 v144, v144                               // 00000000A3C4: 7F200B90
	v_cvt_f32_i32_e32 v145, v145                               // 00000000A3C8: 7F220B91
	v_cvt_f32_i32_e32 v146, v146                               // 00000000A3CC: 7F240B92
	v_cvt_f32_i32_e32 v147, v147                               // 00000000A3D0: 7F260B93
	v_mul_f32_e32 v144, v14, v144                              // 00000000A3D4: 0B21210E
	v_mul_f32_e32 v145, v14, v145                              // 00000000A3D8: 0B23230E
	v_mul_f32_e32 v146, v14, v146                              // 00000000A3DC: 0B25250E
	v_mul_f32_e32 v147, v14, v147                              // 00000000A3E0: 0B27270E
	v_mul_f32_dpp v144, v16, v144 row_newbcast:8 row_mask:0xf bank_mask:0xf// 00000000A3E4: 0B2120FA FF015810
	v_mul_f32_dpp v145, v16, v145 row_newbcast:9 row_mask:0xf bank_mask:0xf// 00000000A3EC: 0B2322FA FF015910
	v_mul_f32_dpp v146, v16, v146 row_newbcast:10 row_mask:0xf bank_mask:0xf// 00000000A3F4: 0B2524FA FF015A10
	v_mul_f32_dpp v147, v16, v147 row_newbcast:11 row_mask:0xf bank_mask:0xf// 00000000A3FC: 0B2726FA FF015B10
	v_cvt_f32_i32_e32 v148, v148                               // 00000000A404: 7F280B94
	v_cvt_f32_i32_e32 v149, v149                               // 00000000A408: 7F2A0B95
	v_cvt_f32_i32_e32 v150, v150                               // 00000000A40C: 7F2C0B96
	v_cvt_f32_i32_e32 v151, v151                               // 00000000A410: 7F2E0B97
	v_mul_f32_e32 v148, v15, v148                              // 00000000A414: 0B29290F
	v_mul_f32_e32 v149, v15, v149                              // 00000000A418: 0B2B2B0F
	v_mul_f32_e32 v150, v15, v150                              // 00000000A41C: 0B2D2D0F
	v_mul_f32_e32 v151, v15, v151                              // 00000000A420: 0B2F2F0F
	v_mul_f32_dpp v148, v16, v148 row_newbcast:8 row_mask:0xf bank_mask:0xf// 00000000A424: 0B2928FA FF015810
	v_mul_f32_dpp v149, v16, v149 row_newbcast:9 row_mask:0xf bank_mask:0xf// 00000000A42C: 0B2B2AFA FF015910
	v_mul_f32_dpp v150, v16, v150 row_newbcast:10 row_mask:0xf bank_mask:0xf// 00000000A434: 0B2D2CFA FF015A10
	v_mul_f32_dpp v151, v16, v151 row_newbcast:11 row_mask:0xf bank_mask:0xf// 00000000A43C: 0B2F2EFA FF015B10
	v_cvt_f32_i32_e32 v152, v152                               // 00000000A444: 7F300B98
	v_cvt_f32_i32_e32 v153, v153                               // 00000000A448: 7F320B99
	v_cvt_f32_i32_e32 v154, v154                               // 00000000A44C: 7F340B9A
	v_cvt_f32_i32_e32 v155, v155                               // 00000000A450: 7F360B9B
	v_mul_f32_e32 v152, v14, v152                              // 00000000A454: 0B31310E
	v_mul_f32_e32 v153, v14, v153                              // 00000000A458: 0B33330E
	v_mul_f32_e32 v154, v14, v154                              // 00000000A45C: 0B35350E
	v_mul_f32_e32 v155, v14, v155                              // 00000000A460: 0B37370E
	v_mul_f32_dpp v152, v16, v152 row_newbcast:12 row_mask:0xf bank_mask:0xf// 00000000A464: 0B3130FA FF015C10
	v_mul_f32_dpp v153, v16, v153 row_newbcast:13 row_mask:0xf bank_mask:0xf// 00000000A46C: 0B3332FA FF015D10
	v_mul_f32_dpp v154, v16, v154 row_newbcast:14 row_mask:0xf bank_mask:0xf// 00000000A474: 0B3534FA FF015E10
	v_mul_f32_dpp v155, v16, v155 row_newbcast:15 row_mask:0xf bank_mask:0xf// 00000000A47C: 0B3736FA FF015F10
	v_cvt_f32_i32_e32 v156, v156                               // 00000000A484: 7F380B9C
	v_cvt_f32_i32_e32 v157, v157                               // 00000000A488: 7F3A0B9D
	v_cvt_f32_i32_e32 v158, v158                               // 00000000A48C: 7F3C0B9E
	v_cvt_f32_i32_e32 v159, v159                               // 00000000A490: 7F3E0B9F
	v_mul_f32_e32 v156, v15, v156                              // 00000000A494: 0B39390F
	v_mul_f32_e32 v157, v15, v157                              // 00000000A498: 0B3B3B0F
	v_mul_f32_e32 v158, v15, v158                              // 00000000A49C: 0B3D3D0F
	v_mul_f32_e32 v159, v15, v159                              // 00000000A4A0: 0B3F3F0F
	v_mul_f32_dpp v156, v16, v156 row_newbcast:12 row_mask:0xf bank_mask:0xf// 00000000A4A4: 0B3938FA FF015C10
	v_mul_f32_dpp v157, v16, v157 row_newbcast:13 row_mask:0xf bank_mask:0xf// 00000000A4AC: 0B3B3AFA FF015D10
	v_mul_f32_dpp v158, v16, v158 row_newbcast:14 row_mask:0xf bank_mask:0xf// 00000000A4B4: 0B3D3CFA FF015E10
	v_mul_f32_dpp v159, v16, v159 row_newbcast:15 row_mask:0xf bank_mask:0xf// 00000000A4BC: 0B3F3EFA FF015F10
	v_cvt_f32_i32_e32 v160, v160                               // 00000000A4C4: 7F400BA0
	v_cvt_f32_i32_e32 v161, v161                               // 00000000A4C8: 7F420BA1
	v_cvt_f32_i32_e32 v162, v162                               // 00000000A4CC: 7F440BA2
	v_cvt_f32_i32_e32 v163, v163                               // 00000000A4D0: 7F460BA3
	v_mul_f32_e32 v160, v14, v160                              // 00000000A4D4: 0B41410E
	v_mul_f32_e32 v161, v14, v161                              // 00000000A4D8: 0B43430E
	v_mul_f32_e32 v162, v14, v162                              // 00000000A4DC: 0B45450E
	v_mul_f32_e32 v163, v14, v163                              // 00000000A4E0: 0B47470E
	v_mul_f32_dpp v160, v17, v160 row_newbcast:0 row_mask:0xf bank_mask:0xf// 00000000A4E4: 0B4140FA FF015011
	v_mul_f32_dpp v161, v17, v161 row_newbcast:1 row_mask:0xf bank_mask:0xf// 00000000A4EC: 0B4342FA FF015111
	v_mul_f32_dpp v162, v17, v162 row_newbcast:2 row_mask:0xf bank_mask:0xf// 00000000A4F4: 0B4544FA FF015211
	v_mul_f32_dpp v163, v17, v163 row_newbcast:3 row_mask:0xf bank_mask:0xf// 00000000A4FC: 0B4746FA FF015311
	v_cvt_f32_i32_e32 v164, v164                               // 00000000A504: 7F480BA4
	v_cvt_f32_i32_e32 v165, v165                               // 00000000A508: 7F4A0BA5
	v_cvt_f32_i32_e32 v166, v166                               // 00000000A50C: 7F4C0BA6
	v_cvt_f32_i32_e32 v167, v167                               // 00000000A510: 7F4E0BA7
	v_mul_f32_e32 v164, v15, v164                              // 00000000A514: 0B49490F
	v_mul_f32_e32 v165, v15, v165                              // 00000000A518: 0B4B4B0F
	v_mul_f32_e32 v166, v15, v166                              // 00000000A51C: 0B4D4D0F
	v_mul_f32_e32 v167, v15, v167                              // 00000000A520: 0B4F4F0F
	v_mul_f32_dpp v164, v17, v164 row_newbcast:0 row_mask:0xf bank_mask:0xf// 00000000A524: 0B4948FA FF015011
	v_mul_f32_dpp v165, v17, v165 row_newbcast:1 row_mask:0xf bank_mask:0xf// 00000000A52C: 0B4B4AFA FF015111
	v_mul_f32_dpp v166, v17, v166 row_newbcast:2 row_mask:0xf bank_mask:0xf// 00000000A534: 0B4D4CFA FF015211
	v_mul_f32_dpp v167, v17, v167 row_newbcast:3 row_mask:0xf bank_mask:0xf// 00000000A53C: 0B4F4EFA FF015311
	v_cvt_f32_i32_e32 v168, v168                               // 00000000A544: 7F500BA8
	v_cvt_f32_i32_e32 v169, v169                               // 00000000A548: 7F520BA9
	v_cvt_f32_i32_e32 v170, v170                               // 00000000A54C: 7F540BAA
	v_cvt_f32_i32_e32 v171, v171                               // 00000000A550: 7F560BAB
	v_mul_f32_e32 v168, v14, v168                              // 00000000A554: 0B51510E
	v_mul_f32_e32 v169, v14, v169                              // 00000000A558: 0B53530E
	v_mul_f32_e32 v170, v14, v170                              // 00000000A55C: 0B55550E
	v_mul_f32_e32 v171, v14, v171                              // 00000000A560: 0B57570E
	v_mul_f32_dpp v168, v17, v168 row_newbcast:4 row_mask:0xf bank_mask:0xf// 00000000A564: 0B5150FA FF015411
	v_mul_f32_dpp v169, v17, v169 row_newbcast:5 row_mask:0xf bank_mask:0xf// 00000000A56C: 0B5352FA FF015511
	v_mul_f32_dpp v170, v17, v170 row_newbcast:6 row_mask:0xf bank_mask:0xf// 00000000A574: 0B5554FA FF015611
	v_mul_f32_dpp v171, v17, v171 row_newbcast:7 row_mask:0xf bank_mask:0xf// 00000000A57C: 0B5756FA FF015711
	v_cvt_f32_i32_e32 v172, v172                               // 00000000A584: 7F580BAC
	v_cvt_f32_i32_e32 v173, v173                               // 00000000A588: 7F5A0BAD
	v_cvt_f32_i32_e32 v174, v174                               // 00000000A58C: 7F5C0BAE
	v_cvt_f32_i32_e32 v175, v175                               // 00000000A590: 7F5E0BAF
	v_mul_f32_e32 v172, v15, v172                              // 00000000A594: 0B59590F
	v_mul_f32_e32 v173, v15, v173                              // 00000000A598: 0B5B5B0F
	v_mul_f32_e32 v174, v15, v174                              // 00000000A59C: 0B5D5D0F
	v_mul_f32_e32 v175, v15, v175                              // 00000000A5A0: 0B5F5F0F
	v_mul_f32_dpp v172, v17, v172 row_newbcast:4 row_mask:0xf bank_mask:0xf// 00000000A5A4: 0B5958FA FF015411
	v_mul_f32_dpp v173, v17, v173 row_newbcast:5 row_mask:0xf bank_mask:0xf// 00000000A5AC: 0B5B5AFA FF015511
	v_mul_f32_dpp v174, v17, v174 row_newbcast:6 row_mask:0xf bank_mask:0xf// 00000000A5B4: 0B5D5CFA FF015611
	v_mul_f32_dpp v175, v17, v175 row_newbcast:7 row_mask:0xf bank_mask:0xf// 00000000A5BC: 0B5F5EFA FF015711
	v_cvt_f32_i32_e32 v176, v176                               // 00000000A5C4: 7F600BB0
	v_cvt_f32_i32_e32 v177, v177                               // 00000000A5C8: 7F620BB1
	v_cvt_f32_i32_e32 v178, v178                               // 00000000A5CC: 7F640BB2
	v_cvt_f32_i32_e32 v179, v179                               // 00000000A5D0: 7F660BB3
	v_mul_f32_e32 v176, v14, v176                              // 00000000A5D4: 0B61610E
	v_mul_f32_e32 v177, v14, v177                              // 00000000A5D8: 0B63630E
	v_mul_f32_e32 v178, v14, v178                              // 00000000A5DC: 0B65650E
	v_mul_f32_e32 v179, v14, v179                              // 00000000A5E0: 0B67670E
	v_mul_f32_dpp v176, v17, v176 row_newbcast:8 row_mask:0xf bank_mask:0xf// 00000000A5E4: 0B6160FA FF015811
	v_mul_f32_dpp v177, v17, v177 row_newbcast:9 row_mask:0xf bank_mask:0xf// 00000000A5EC: 0B6362FA FF015911
	v_mul_f32_dpp v178, v17, v178 row_newbcast:10 row_mask:0xf bank_mask:0xf// 00000000A5F4: 0B6564FA FF015A11
	v_mul_f32_dpp v179, v17, v179 row_newbcast:11 row_mask:0xf bank_mask:0xf// 00000000A5FC: 0B6766FA FF015B11
	v_cvt_f32_i32_e32 v180, v180                               // 00000000A604: 7F680BB4
	v_cvt_f32_i32_e32 v181, v181                               // 00000000A608: 7F6A0BB5
	v_cvt_f32_i32_e32 v182, v182                               // 00000000A60C: 7F6C0BB6
	v_cvt_f32_i32_e32 v183, v183                               // 00000000A610: 7F6E0BB7
	v_mul_f32_e32 v180, v15, v180                              // 00000000A614: 0B69690F
	v_mul_f32_e32 v181, v15, v181                              // 00000000A618: 0B6B6B0F
	v_mul_f32_e32 v182, v15, v182                              // 00000000A61C: 0B6D6D0F
	v_mul_f32_e32 v183, v15, v183                              // 00000000A620: 0B6F6F0F
	v_mul_f32_dpp v180, v17, v180 row_newbcast:8 row_mask:0xf bank_mask:0xf// 00000000A624: 0B6968FA FF015811
	v_mul_f32_dpp v181, v17, v181 row_newbcast:9 row_mask:0xf bank_mask:0xf// 00000000A62C: 0B6B6AFA FF015911
	v_mul_f32_dpp v182, v17, v182 row_newbcast:10 row_mask:0xf bank_mask:0xf// 00000000A634: 0B6D6CFA FF015A11
	v_mul_f32_dpp v183, v17, v183 row_newbcast:11 row_mask:0xf bank_mask:0xf// 00000000A63C: 0B6F6EFA FF015B11
	v_cvt_f32_i32_e32 v184, v184                               // 00000000A644: 7F700BB8
	v_cvt_f32_i32_e32 v185, v185                               // 00000000A648: 7F720BB9
	v_cvt_f32_i32_e32 v186, v186                               // 00000000A64C: 7F740BBA
	v_cvt_f32_i32_e32 v187, v187                               // 00000000A650: 7F760BBB
	v_mul_f32_e32 v184, v14, v184                              // 00000000A654: 0B71710E
	v_mul_f32_e32 v185, v14, v185                              // 00000000A658: 0B73730E
	v_mul_f32_e32 v186, v14, v186                              // 00000000A65C: 0B75750E
	v_mul_f32_e32 v187, v14, v187                              // 00000000A660: 0B77770E
	v_mul_f32_dpp v184, v17, v184 row_newbcast:12 row_mask:0xf bank_mask:0xf// 00000000A664: 0B7170FA FF015C11
	v_mul_f32_dpp v185, v17, v185 row_newbcast:13 row_mask:0xf bank_mask:0xf// 00000000A66C: 0B7372FA FF015D11
	v_mul_f32_dpp v186, v17, v186 row_newbcast:14 row_mask:0xf bank_mask:0xf// 00000000A674: 0B7574FA FF015E11
	v_mul_f32_dpp v187, v17, v187 row_newbcast:15 row_mask:0xf bank_mask:0xf// 00000000A67C: 0B7776FA FF015F11
	v_cvt_f32_i32_e32 v188, v188                               // 00000000A684: 7F780BBC
	v_cvt_f32_i32_e32 v189, v189                               // 00000000A688: 7F7A0BBD
	v_cvt_f32_i32_e32 v190, v190                               // 00000000A68C: 7F7C0BBE
	v_cvt_f32_i32_e32 v191, v191                               // 00000000A690: 7F7E0BBF
	v_mul_f32_e32 v188, v15, v188                              // 00000000A694: 0B79790F
	v_mul_f32_e32 v189, v15, v189                              // 00000000A698: 0B7B7B0F
	v_mul_f32_e32 v190, v15, v190                              // 00000000A69C: 0B7D7D0F
	v_mul_f32_e32 v191, v15, v191                              // 00000000A6A0: 0B7F7F0F
	v_mul_f32_dpp v188, v17, v188 row_newbcast:12 row_mask:0xf bank_mask:0xf// 00000000A6A4: 0B7978FA FF015C11
	v_mul_f32_dpp v189, v17, v189 row_newbcast:13 row_mask:0xf bank_mask:0xf// 00000000A6AC: 0B7B7AFA FF015D11
	v_mul_f32_dpp v190, v17, v190 row_newbcast:14 row_mask:0xf bank_mask:0xf// 00000000A6B4: 0B7D7CFA FF015E11
	v_mul_f32_dpp v191, v17, v191 row_newbcast:15 row_mask:0xf bank_mask:0xf// 00000000A6BC: 0B7F7EFA FF015F11
	v_cvt_f32_i32_e32 v64, v64                                 // 00000000A6C4: 7E800B40
	v_cvt_f32_i32_e32 v65, v65                                 // 00000000A6C8: 7E820B41
	v_cvt_f32_i32_e32 v66, v66                                 // 00000000A6CC: 7E840B42
	v_cvt_f32_i32_e32 v67, v67                                 // 00000000A6D0: 7E860B43
	v_mul_f32_e32 v64, v14, v64                                // 00000000A6D4: 0A80810E
	v_mul_f32_e32 v65, v14, v65                                // 00000000A6D8: 0A82830E
	v_mul_f32_e32 v66, v14, v66                                // 00000000A6DC: 0A84850E
	v_mul_f32_e32 v67, v14, v67                                // 00000000A6E0: 0A86870E
	v_mul_f32_dpp v64, v50, v64 row_newbcast:0 row_mask:0xf bank_mask:0xf// 00000000A6E4: 0A8080FA FF015032
	v_mul_f32_dpp v65, v50, v65 row_newbcast:1 row_mask:0xf bank_mask:0xf// 00000000A6EC: 0A8282FA FF015132
	v_mul_f32_dpp v66, v50, v66 row_newbcast:2 row_mask:0xf bank_mask:0xf// 00000000A6F4: 0A8484FA FF015232
	v_mul_f32_dpp v67, v50, v67 row_newbcast:3 row_mask:0xf bank_mask:0xf// 00000000A6FC: 0A8686FA FF015332
	v_cvt_f32_i32_e32 v68, v68                                 // 00000000A704: 7E880B44
	v_cvt_f32_i32_e32 v69, v69                                 // 00000000A708: 7E8A0B45
	v_cvt_f32_i32_e32 v70, v70                                 // 00000000A70C: 7E8C0B46
	v_cvt_f32_i32_e32 v71, v71                                 // 00000000A710: 7E8E0B47
	v_mul_f32_e32 v68, v15, v68                                // 00000000A714: 0A88890F
	v_mul_f32_e32 v69, v15, v69                                // 00000000A718: 0A8A8B0F
	v_mul_f32_e32 v70, v15, v70                                // 00000000A71C: 0A8C8D0F
	v_mul_f32_e32 v71, v15, v71                                // 00000000A720: 0A8E8F0F
	v_mul_f32_dpp v68, v50, v68 row_newbcast:0 row_mask:0xf bank_mask:0xf// 00000000A724: 0A8888FA FF015032
	v_mul_f32_dpp v69, v50, v69 row_newbcast:1 row_mask:0xf bank_mask:0xf// 00000000A72C: 0A8A8AFA FF015132
	v_mul_f32_dpp v70, v50, v70 row_newbcast:2 row_mask:0xf bank_mask:0xf// 00000000A734: 0A8C8CFA FF015232
	v_mul_f32_dpp v71, v50, v71 row_newbcast:3 row_mask:0xf bank_mask:0xf// 00000000A73C: 0A8E8EFA FF015332
	v_cvt_f32_i32_e32 v72, v72                                 // 00000000A744: 7E900B48
	v_cvt_f32_i32_e32 v73, v73                                 // 00000000A748: 7E920B49
	v_cvt_f32_i32_e32 v74, v74                                 // 00000000A74C: 7E940B4A
	v_cvt_f32_i32_e32 v75, v75                                 // 00000000A750: 7E960B4B
	v_mul_f32_e32 v72, v14, v72                                // 00000000A754: 0A90910E
	v_mul_f32_e32 v73, v14, v73                                // 00000000A758: 0A92930E
	v_mul_f32_e32 v74, v14, v74                                // 00000000A75C: 0A94950E
	v_mul_f32_e32 v75, v14, v75                                // 00000000A760: 0A96970E
	v_mul_f32_dpp v72, v50, v72 row_newbcast:4 row_mask:0xf bank_mask:0xf// 00000000A764: 0A9090FA FF015432
	v_mul_f32_dpp v73, v50, v73 row_newbcast:5 row_mask:0xf bank_mask:0xf// 00000000A76C: 0A9292FA FF015532
	v_mul_f32_dpp v74, v50, v74 row_newbcast:6 row_mask:0xf bank_mask:0xf// 00000000A774: 0A9494FA FF015632
	v_mul_f32_dpp v75, v50, v75 row_newbcast:7 row_mask:0xf bank_mask:0xf// 00000000A77C: 0A9696FA FF015732
	v_cvt_f32_i32_e32 v76, v76                                 // 00000000A784: 7E980B4C
	v_cvt_f32_i32_e32 v77, v77                                 // 00000000A788: 7E9A0B4D
	v_cvt_f32_i32_e32 v78, v78                                 // 00000000A78C: 7E9C0B4E
	v_cvt_f32_i32_e32 v79, v79                                 // 00000000A790: 7E9E0B4F
	v_mul_f32_e32 v76, v15, v76                                // 00000000A794: 0A98990F
	v_mul_f32_e32 v77, v15, v77                                // 00000000A798: 0A9A9B0F
	v_mul_f32_e32 v78, v15, v78                                // 00000000A79C: 0A9C9D0F
	v_mul_f32_e32 v79, v15, v79                                // 00000000A7A0: 0A9E9F0F
	v_mul_f32_dpp v76, v50, v76 row_newbcast:4 row_mask:0xf bank_mask:0xf// 00000000A7A4: 0A9898FA FF015432
	v_mul_f32_dpp v77, v50, v77 row_newbcast:5 row_mask:0xf bank_mask:0xf// 00000000A7AC: 0A9A9AFA FF015532
	v_mul_f32_dpp v78, v50, v78 row_newbcast:6 row_mask:0xf bank_mask:0xf// 00000000A7B4: 0A9C9CFA FF015632
	v_mul_f32_dpp v79, v50, v79 row_newbcast:7 row_mask:0xf bank_mask:0xf// 00000000A7BC: 0A9E9EFA FF015732
	v_cvt_f32_i32_e32 v80, v80                                 // 00000000A7C4: 7EA00B50
	v_cvt_f32_i32_e32 v81, v81                                 // 00000000A7C8: 7EA20B51
	v_cvt_f32_i32_e32 v82, v82                                 // 00000000A7CC: 7EA40B52
	v_cvt_f32_i32_e32 v83, v83                                 // 00000000A7D0: 7EA60B53
	v_mul_f32_e32 v80, v14, v80                                // 00000000A7D4: 0AA0A10E
	v_mul_f32_e32 v81, v14, v81                                // 00000000A7D8: 0AA2A30E
	v_mul_f32_e32 v82, v14, v82                                // 00000000A7DC: 0AA4A50E
	v_mul_f32_e32 v83, v14, v83                                // 00000000A7E0: 0AA6A70E
	v_mul_f32_dpp v80, v50, v80 row_newbcast:8 row_mask:0xf bank_mask:0xf// 00000000A7E4: 0AA0A0FA FF015832
	v_mul_f32_dpp v81, v50, v81 row_newbcast:9 row_mask:0xf bank_mask:0xf// 00000000A7EC: 0AA2A2FA FF015932
	v_mul_f32_dpp v82, v50, v82 row_newbcast:10 row_mask:0xf bank_mask:0xf// 00000000A7F4: 0AA4A4FA FF015A32
	v_mul_f32_dpp v83, v50, v83 row_newbcast:11 row_mask:0xf bank_mask:0xf// 00000000A7FC: 0AA6A6FA FF015B32
	v_cvt_f32_i32_e32 v84, v84                                 // 00000000A804: 7EA80B54
	v_cvt_f32_i32_e32 v85, v85                                 // 00000000A808: 7EAA0B55
	v_cvt_f32_i32_e32 v86, v86                                 // 00000000A80C: 7EAC0B56
	v_cvt_f32_i32_e32 v87, v87                                 // 00000000A810: 7EAE0B57
	v_mul_f32_e32 v84, v15, v84                                // 00000000A814: 0AA8A90F
	v_mul_f32_e32 v85, v15, v85                                // 00000000A818: 0AAAAB0F
	v_mul_f32_e32 v86, v15, v86                                // 00000000A81C: 0AACAD0F
	v_mul_f32_e32 v87, v15, v87                                // 00000000A820: 0AAEAF0F
	v_mul_f32_dpp v84, v50, v84 row_newbcast:8 row_mask:0xf bank_mask:0xf// 00000000A824: 0AA8A8FA FF015832
	v_mul_f32_dpp v85, v50, v85 row_newbcast:9 row_mask:0xf bank_mask:0xf// 00000000A82C: 0AAAAAFA FF015932
	v_mul_f32_dpp v86, v50, v86 row_newbcast:10 row_mask:0xf bank_mask:0xf// 00000000A834: 0AACACFA FF015A32
	v_mul_f32_dpp v87, v50, v87 row_newbcast:11 row_mask:0xf bank_mask:0xf// 00000000A83C: 0AAEAEFA FF015B32
	v_cvt_f32_i32_e32 v88, v88                                 // 00000000A844: 7EB00B58
	v_cvt_f32_i32_e32 v89, v89                                 // 00000000A848: 7EB20B59
	v_cvt_f32_i32_e32 v90, v90                                 // 00000000A84C: 7EB40B5A
	v_cvt_f32_i32_e32 v91, v91                                 // 00000000A850: 7EB60B5B
	v_mul_f32_e32 v88, v14, v88                                // 00000000A854: 0AB0B10E
	v_mul_f32_e32 v89, v14, v89                                // 00000000A858: 0AB2B30E
	v_mul_f32_e32 v90, v14, v90                                // 00000000A85C: 0AB4B50E
	v_mul_f32_e32 v91, v14, v91                                // 00000000A860: 0AB6B70E
	v_mul_f32_dpp v88, v50, v88 row_newbcast:12 row_mask:0xf bank_mask:0xf// 00000000A864: 0AB0B0FA FF015C32
	v_mul_f32_dpp v89, v50, v89 row_newbcast:13 row_mask:0xf bank_mask:0xf// 00000000A86C: 0AB2B2FA FF015D32
	v_mul_f32_dpp v90, v50, v90 row_newbcast:14 row_mask:0xf bank_mask:0xf// 00000000A874: 0AB4B4FA FF015E32
	v_mul_f32_dpp v91, v50, v91 row_newbcast:15 row_mask:0xf bank_mask:0xf// 00000000A87C: 0AB6B6FA FF015F32
	v_cvt_f32_i32_e32 v92, v92                                 // 00000000A884: 7EB80B5C
	v_cvt_f32_i32_e32 v93, v93                                 // 00000000A888: 7EBA0B5D
	v_cvt_f32_i32_e32 v94, v94                                 // 00000000A88C: 7EBC0B5E
	v_cvt_f32_i32_e32 v95, v95                                 // 00000000A890: 7EBE0B5F
	v_mul_f32_e32 v92, v15, v92                                // 00000000A894: 0AB8B90F
	v_mul_f32_e32 v93, v15, v93                                // 00000000A898: 0ABABB0F
	v_mul_f32_e32 v94, v15, v94                                // 00000000A89C: 0ABCBD0F
	v_mul_f32_e32 v95, v15, v95                                // 00000000A8A0: 0ABEBF0F
	v_mul_f32_dpp v92, v50, v92 row_newbcast:12 row_mask:0xf bank_mask:0xf// 00000000A8A4: 0AB8B8FA FF015C32
	v_mul_f32_dpp v93, v50, v93 row_newbcast:13 row_mask:0xf bank_mask:0xf// 00000000A8AC: 0ABABAFA FF015D32
	v_mul_f32_dpp v94, v50, v94 row_newbcast:14 row_mask:0xf bank_mask:0xf// 00000000A8B4: 0ABCBCFA FF015E32
	v_mul_f32_dpp v95, v50, v95 row_newbcast:15 row_mask:0xf bank_mask:0xf// 00000000A8BC: 0ABEBEFA FF015F32
	v_cvt_f32_i32_e32 v96, v96                                 // 00000000A8C4: 7EC00B60
	v_cvt_f32_i32_e32 v97, v97                                 // 00000000A8C8: 7EC20B61
	v_cvt_f32_i32_e32 v98, v98                                 // 00000000A8CC: 7EC40B62
	v_cvt_f32_i32_e32 v99, v99                                 // 00000000A8D0: 7EC60B63
	v_mul_f32_e32 v96, v14, v96                                // 00000000A8D4: 0AC0C10E
	v_mul_f32_e32 v97, v14, v97                                // 00000000A8D8: 0AC2C30E
	v_mul_f32_e32 v98, v14, v98                                // 00000000A8DC: 0AC4C50E
	v_mul_f32_e32 v99, v14, v99                                // 00000000A8E0: 0AC6C70E
	v_mul_f32_dpp v96, v51, v96 row_newbcast:0 row_mask:0xf bank_mask:0xf// 00000000A8E4: 0AC0C0FA FF015033
	v_mul_f32_dpp v97, v51, v97 row_newbcast:1 row_mask:0xf bank_mask:0xf// 00000000A8EC: 0AC2C2FA FF015133
	v_mul_f32_dpp v98, v51, v98 row_newbcast:2 row_mask:0xf bank_mask:0xf// 00000000A8F4: 0AC4C4FA FF015233
	v_mul_f32_dpp v99, v51, v99 row_newbcast:3 row_mask:0xf bank_mask:0xf// 00000000A8FC: 0AC6C6FA FF015333
	v_cvt_f32_i32_e32 v100, v100                               // 00000000A904: 7EC80B64
	v_cvt_f32_i32_e32 v101, v101                               // 00000000A908: 7ECA0B65
	v_cvt_f32_i32_e32 v102, v102                               // 00000000A90C: 7ECC0B66
	v_cvt_f32_i32_e32 v103, v103                               // 00000000A910: 7ECE0B67
	v_mul_f32_e32 v100, v15, v100                              // 00000000A914: 0AC8C90F
	v_mul_f32_e32 v101, v15, v101                              // 00000000A918: 0ACACB0F
	v_mul_f32_e32 v102, v15, v102                              // 00000000A91C: 0ACCCD0F
	v_mul_f32_e32 v103, v15, v103                              // 00000000A920: 0ACECF0F
	v_mul_f32_dpp v100, v51, v100 row_newbcast:0 row_mask:0xf bank_mask:0xf// 00000000A924: 0AC8C8FA FF015033
	v_mul_f32_dpp v101, v51, v101 row_newbcast:1 row_mask:0xf bank_mask:0xf// 00000000A92C: 0ACACAFA FF015133
	v_mul_f32_dpp v102, v51, v102 row_newbcast:2 row_mask:0xf bank_mask:0xf// 00000000A934: 0ACCCCFA FF015233
	v_mul_f32_dpp v103, v51, v103 row_newbcast:3 row_mask:0xf bank_mask:0xf// 00000000A93C: 0ACECEFA FF015333
	v_cvt_f32_i32_e32 v104, v104                               // 00000000A944: 7ED00B68
	v_cvt_f32_i32_e32 v105, v105                               // 00000000A948: 7ED20B69
	v_cvt_f32_i32_e32 v106, v106                               // 00000000A94C: 7ED40B6A
	v_cvt_f32_i32_e32 v107, v107                               // 00000000A950: 7ED60B6B
	v_mul_f32_e32 v104, v14, v104                              // 00000000A954: 0AD0D10E
	v_mul_f32_e32 v105, v14, v105                              // 00000000A958: 0AD2D30E
	v_mul_f32_e32 v106, v14, v106                              // 00000000A95C: 0AD4D50E
	v_mul_f32_e32 v107, v14, v107                              // 00000000A960: 0AD6D70E
	v_mul_f32_dpp v104, v51, v104 row_newbcast:4 row_mask:0xf bank_mask:0xf// 00000000A964: 0AD0D0FA FF015433
	v_mul_f32_dpp v105, v51, v105 row_newbcast:5 row_mask:0xf bank_mask:0xf// 00000000A96C: 0AD2D2FA FF015533
	v_mul_f32_dpp v106, v51, v106 row_newbcast:6 row_mask:0xf bank_mask:0xf// 00000000A974: 0AD4D4FA FF015633
	v_mul_f32_dpp v107, v51, v107 row_newbcast:7 row_mask:0xf bank_mask:0xf// 00000000A97C: 0AD6D6FA FF015733
	v_cvt_f32_i32_e32 v108, v108                               // 00000000A984: 7ED80B6C
	v_cvt_f32_i32_e32 v109, v109                               // 00000000A988: 7EDA0B6D
	v_cvt_f32_i32_e32 v110, v110                               // 00000000A98C: 7EDC0B6E
	v_cvt_f32_i32_e32 v111, v111                               // 00000000A990: 7EDE0B6F
	v_mul_f32_e32 v108, v15, v108                              // 00000000A994: 0AD8D90F
	v_mul_f32_e32 v109, v15, v109                              // 00000000A998: 0ADADB0F
	v_mul_f32_e32 v110, v15, v110                              // 00000000A99C: 0ADCDD0F
	v_mul_f32_e32 v111, v15, v111                              // 00000000A9A0: 0ADEDF0F
	v_mul_f32_dpp v108, v51, v108 row_newbcast:4 row_mask:0xf bank_mask:0xf// 00000000A9A4: 0AD8D8FA FF015433
	v_mul_f32_dpp v109, v51, v109 row_newbcast:5 row_mask:0xf bank_mask:0xf// 00000000A9AC: 0ADADAFA FF015533
	v_mul_f32_dpp v110, v51, v110 row_newbcast:6 row_mask:0xf bank_mask:0xf// 00000000A9B4: 0ADCDCFA FF015633
	v_mul_f32_dpp v111, v51, v111 row_newbcast:7 row_mask:0xf bank_mask:0xf// 00000000A9BC: 0ADEDEFA FF015733
	v_cvt_f32_i32_e32 v112, v112                               // 00000000A9C4: 7EE00B70
	v_cvt_f32_i32_e32 v113, v113                               // 00000000A9C8: 7EE20B71
	v_cvt_f32_i32_e32 v114, v114                               // 00000000A9CC: 7EE40B72
	v_cvt_f32_i32_e32 v115, v115                               // 00000000A9D0: 7EE60B73
	v_mul_f32_e32 v112, v14, v112                              // 00000000A9D4: 0AE0E10E
	v_mul_f32_e32 v113, v14, v113                              // 00000000A9D8: 0AE2E30E
	v_mul_f32_e32 v114, v14, v114                              // 00000000A9DC: 0AE4E50E
	v_mul_f32_e32 v115, v14, v115                              // 00000000A9E0: 0AE6E70E
	v_mul_f32_dpp v112, v51, v112 row_newbcast:8 row_mask:0xf bank_mask:0xf// 00000000A9E4: 0AE0E0FA FF015833
	v_mul_f32_dpp v113, v51, v113 row_newbcast:9 row_mask:0xf bank_mask:0xf// 00000000A9EC: 0AE2E2FA FF015933
	v_mul_f32_dpp v114, v51, v114 row_newbcast:10 row_mask:0xf bank_mask:0xf// 00000000A9F4: 0AE4E4FA FF015A33
	v_mul_f32_dpp v115, v51, v115 row_newbcast:11 row_mask:0xf bank_mask:0xf// 00000000A9FC: 0AE6E6FA FF015B33
	v_cvt_f32_i32_e32 v116, v116                               // 00000000AA04: 7EE80B74
	v_cvt_f32_i32_e32 v117, v117                               // 00000000AA08: 7EEA0B75
	v_cvt_f32_i32_e32 v118, v118                               // 00000000AA0C: 7EEC0B76
	v_cvt_f32_i32_e32 v119, v119                               // 00000000AA10: 7EEE0B77
	v_mul_f32_e32 v116, v15, v116                              // 00000000AA14: 0AE8E90F
	v_mul_f32_e32 v117, v15, v117                              // 00000000AA18: 0AEAEB0F
	v_mul_f32_e32 v118, v15, v118                              // 00000000AA1C: 0AECED0F
	v_mul_f32_e32 v119, v15, v119                              // 00000000AA20: 0AEEEF0F
	v_mul_f32_dpp v116, v51, v116 row_newbcast:8 row_mask:0xf bank_mask:0xf// 00000000AA24: 0AE8E8FA FF015833
	v_mul_f32_dpp v117, v51, v117 row_newbcast:9 row_mask:0xf bank_mask:0xf// 00000000AA2C: 0AEAEAFA FF015933
	v_mul_f32_dpp v118, v51, v118 row_newbcast:10 row_mask:0xf bank_mask:0xf// 00000000AA34: 0AECECFA FF015A33
	v_mul_f32_dpp v119, v51, v119 row_newbcast:11 row_mask:0xf bank_mask:0xf// 00000000AA3C: 0AEEEEFA FF015B33
	v_cvt_f32_i32_e32 v120, v120                               // 00000000AA44: 7EF00B78
	v_cvt_f32_i32_e32 v121, v121                               // 00000000AA48: 7EF20B79
	v_cvt_f32_i32_e32 v122, v122                               // 00000000AA4C: 7EF40B7A
	v_cvt_f32_i32_e32 v123, v123                               // 00000000AA50: 7EF60B7B
	v_mul_f32_e32 v120, v14, v120                              // 00000000AA54: 0AF0F10E
	v_mul_f32_e32 v121, v14, v121                              // 00000000AA58: 0AF2F30E
	v_mul_f32_e32 v122, v14, v122                              // 00000000AA5C: 0AF4F50E
	v_mul_f32_e32 v123, v14, v123                              // 00000000AA60: 0AF6F70E
	v_mul_f32_dpp v120, v51, v120 row_newbcast:12 row_mask:0xf bank_mask:0xf// 00000000AA64: 0AF0F0FA FF015C33
	v_mul_f32_dpp v121, v51, v121 row_newbcast:13 row_mask:0xf bank_mask:0xf// 00000000AA6C: 0AF2F2FA FF015D33
	v_mul_f32_dpp v122, v51, v122 row_newbcast:14 row_mask:0xf bank_mask:0xf// 00000000AA74: 0AF4F4FA FF015E33
	v_mul_f32_dpp v123, v51, v123 row_newbcast:15 row_mask:0xf bank_mask:0xf// 00000000AA7C: 0AF6F6FA FF015F33
	v_cvt_f32_i32_e32 v124, v124                               // 00000000AA84: 7EF80B7C
	v_cvt_f32_i32_e32 v125, v125                               // 00000000AA88: 7EFA0B7D
	v_cvt_f32_i32_e32 v126, v126                               // 00000000AA8C: 7EFC0B7E
	v_cvt_f32_i32_e32 v127, v127                               // 00000000AA90: 7EFE0B7F
	v_mul_f32_e32 v124, v15, v124                              // 00000000AA94: 0AF8F90F
	v_mul_f32_e32 v125, v15, v125                              // 00000000AA98: 0AFAFB0F
	v_mul_f32_e32 v126, v15, v126                              // 00000000AA9C: 0AFCFD0F
	v_mul_f32_e32 v127, v15, v127                              // 00000000AAA0: 0AFEFF0F
	v_mul_f32_dpp v124, v51, v124 row_newbcast:12 row_mask:0xf bank_mask:0xf// 00000000AAA4: 0AF8F8FA FF015C33
	v_mul_f32_dpp v125, v51, v125 row_newbcast:13 row_mask:0xf bank_mask:0xf// 00000000AAAC: 0AFAFAFA FF015D33
	v_mul_f32_dpp v126, v51, v126 row_newbcast:14 row_mask:0xf bank_mask:0xf// 00000000AAB4: 0AFCFCFA FF015E33
	v_mul_f32_dpp v127, v51, v127 row_newbcast:15 row_mask:0xf bank_mask:0xf// 00000000AABC: 0AFEFEFA FF015F33
	s_waitcnt vmcnt(28)                                        // 00000000AAC4: BF8C4F7C
	buffer_load_dwordx4 a[0:3], v42, s[12:15], 0 offen         // 00000000AAC8: E05C1000 8083002A
	v_mul_f32_e32 v52, v128, v128                              // 00000000AAD0: 0A690180
	v_mul_f32_e32 v53, v129, v129                              // 00000000AAD4: 0A6B0381
	v_mul_f32_e32 v54, v130, v130                              // 00000000AAD8: 0A6D0582
	v_mul_f32_e32 v55, v131, v131                              // 00000000AADC: 0A6F0783
	v_fma_f32 v52, v52, s77, v1                                // 00000000AAE0: D1CB0034 04049B34
	v_fma_f32 v53, v53, s77, v1                                // 00000000AAE8: D1CB0035 04049B35
	v_fma_f32 v54, v54, s77, v1                                // 00000000AAF0: D1CB0036 04049B36
	v_fma_f32 v55, v55, s77, v1                                // 00000000AAF8: D1CB0037 04049B37
	v_mul_f32_e32 v52, v52, v128                               // 00000000AB00: 0A690134
	v_mul_f32_e32 v53, v53, v129                               // 00000000AB04: 0A6B0335
	v_mul_f32_e32 v54, v54, v130                               // 00000000AB08: 0A6D0536
	v_mul_f32_e32 v55, v55, v131                               // 00000000AB0C: 0A6F0737
	v_mul_f32_e64 v52, v52, s6                                 // 00000000AB10: D1050034 00000D34
	v_mul_f32_e64 v53, v53, s6                                 // 00000000AB18: D1050035 00000D35
	v_mul_f32_e64 v54, v54, s6                                 // 00000000AB20: D1050036 00000D36
	v_mul_f32_e64 v55, v55, s6                                 // 00000000AB28: D1050037 00000D37
	v_exp_f32_e32 v52, v52                                     // 00000000AB30: 7E684134
	v_exp_f32_e32 v53, v53                                     // 00000000AB34: 7E6A4135
	v_exp_f32_e32 v54, v54                                     // 00000000AB38: 7E6C4136
	v_exp_f32_e32 v55, v55                                     // 00000000AB3C: 7E6E4137
	buffer_load_dwordx4 a[4:7], v43, s[12:15], 0 offen         // 00000000AB40: E05C1000 8083042B
	v_add_f32_e64 v52, v52, 1.0                                // 00000000AB48: D1010034 0001E534
	v_add_f32_e64 v53, v53, 1.0                                // 00000000AB50: D1010035 0001E535
	v_add_f32_e64 v54, v54, 1.0                                // 00000000AB58: D1010036 0001E536
	v_add_f32_e64 v55, v55, 1.0                                // 00000000AB60: D1010037 0001E537
	v_rcp_f32_e32 v52, v52                                     // 00000000AB68: 7E684534
	v_rcp_f32_e32 v53, v53                                     // 00000000AB6C: 7E6A4535
	v_rcp_f32_e32 v54, v54                                     // 00000000AB70: 7E6C4536
	v_rcp_f32_e32 v55, v55                                     // 00000000AB74: 7E6E4537
	v_mul_f32_e32 v128, v128, v52                              // 00000000AB78: 0B006980
	v_mul_f32_e32 v129, v129, v53                              // 00000000AB7C: 0B026B81
	v_mul_f32_e32 v130, v130, v54                              // 00000000AB80: 0B046D82
	v_mul_f32_e32 v131, v131, v55                              // 00000000AB84: 0B066F83
	v_mul_f32_e32 v128, v128, v64                              // 00000000AB88: 0B008180
	v_mul_f32_e32 v129, v129, v65                              // 00000000AB8C: 0B028381
	v_mul_f32_e32 v130, v130, v66                              // 00000000AB90: 0B048582
	v_mul_f32_e32 v131, v131, v67                              // 00000000AB94: 0B068783
	buffer_load_dwordx4 a[8:11], v44, s[12:15], 0 offen        // 00000000AB98: E05C1000 8083082C
	v_mul_f32_e32 v52, v132, v132                              // 00000000ABA0: 0A690984
	v_mul_f32_e32 v53, v133, v133                              // 00000000ABA4: 0A6B0B85
	v_mul_f32_e32 v54, v134, v134                              // 00000000ABA8: 0A6D0D86
	v_mul_f32_e32 v55, v135, v135                              // 00000000ABAC: 0A6F0F87
	v_fma_f32 v52, v52, s77, v1                                // 00000000ABB0: D1CB0034 04049B34
	v_fma_f32 v53, v53, s77, v1                                // 00000000ABB8: D1CB0035 04049B35
	v_fma_f32 v54, v54, s77, v1                                // 00000000ABC0: D1CB0036 04049B36
	v_fma_f32 v55, v55, s77, v1                                // 00000000ABC8: D1CB0037 04049B37
	v_mul_f32_e32 v52, v52, v132                               // 00000000ABD0: 0A690934
	v_mul_f32_e32 v53, v53, v133                               // 00000000ABD4: 0A6B0B35
	v_mul_f32_e32 v54, v54, v134                               // 00000000ABD8: 0A6D0D36
	v_mul_f32_e32 v55, v55, v135                               // 00000000ABDC: 0A6F0F37
	v_mul_f32_e64 v52, v52, s6                                 // 00000000ABE0: D1050034 00000D34
	v_mul_f32_e64 v53, v53, s6                                 // 00000000ABE8: D1050035 00000D35
	v_mul_f32_e64 v54, v54, s6                                 // 00000000ABF0: D1050036 00000D36
	v_mul_f32_e64 v55, v55, s6                                 // 00000000ABF8: D1050037 00000D37
	v_exp_f32_e32 v52, v52                                     // 00000000AC00: 7E684134
	v_exp_f32_e32 v53, v53                                     // 00000000AC04: 7E6A4135
	v_exp_f32_e32 v54, v54                                     // 00000000AC08: 7E6C4136
	v_exp_f32_e32 v55, v55                                     // 00000000AC0C: 7E6E4137
	buffer_load_dwordx4 a[12:15], v45, s[12:15], 0 offen       // 00000000AC10: E05C1000 80830C2D
	s_add_u32 s12, s78, s12                                    // 00000000AC18: 800C0C4E
	s_addc_u32 s13, 0, s13                                     // 00000000AC1C: 820D0D80
	v_add_f32_e64 v52, v52, 1.0                                // 00000000AC20: D1010034 0001E534
	v_add_f32_e64 v53, v53, 1.0                                // 00000000AC28: D1010035 0001E535
	v_add_f32_e64 v54, v54, 1.0                                // 00000000AC30: D1010036 0001E536
	v_add_f32_e64 v55, v55, 1.0                                // 00000000AC38: D1010037 0001E537
	v_rcp_f32_e32 v52, v52                                     // 00000000AC40: 7E684534
	v_rcp_f32_e32 v53, v53                                     // 00000000AC44: 7E6A4535
	v_rcp_f32_e32 v54, v54                                     // 00000000AC48: 7E6C4536
	v_rcp_f32_e32 v55, v55                                     // 00000000AC4C: 7E6E4537
	v_mul_f32_e32 v132, v132, v52                              // 00000000AC50: 0B086984
	v_mul_f32_e32 v133, v133, v53                              // 00000000AC54: 0B0A6B85
	v_mul_f32_e32 v134, v134, v54                              // 00000000AC58: 0B0C6D86
	v_mul_f32_e32 v135, v135, v55                              // 00000000AC5C: 0B0E6F87
	v_mul_f32_e32 v132, v132, v68                              // 00000000AC60: 0B088984
	v_mul_f32_e32 v133, v133, v69                              // 00000000AC64: 0B0A8B85
	v_mul_f32_e32 v134, v134, v70                              // 00000000AC68: 0B0C8D86
	v_mul_f32_e32 v135, v135, v71                              // 00000000AC6C: 0B0E8F87
	s_waitcnt vmcnt(28)                                        // 00000000AC70: BF8C4F7C
	buffer_load_dwordx4 a[16:19], v42, s[12:15], 0 offen       // 00000000AC74: E05C1000 8083102A
	v_mul_f32_e32 v52, v136, v136                              // 00000000AC7C: 0A691188
	v_mul_f32_e32 v53, v137, v137                              // 00000000AC80: 0A6B1389
	v_mul_f32_e32 v54, v138, v138                              // 00000000AC84: 0A6D158A
	v_mul_f32_e32 v55, v139, v139                              // 00000000AC88: 0A6F178B
	v_fma_f32 v52, v52, s77, v1                                // 00000000AC8C: D1CB0034 04049B34
	v_fma_f32 v53, v53, s77, v1                                // 00000000AC94: D1CB0035 04049B35
	v_fma_f32 v54, v54, s77, v1                                // 00000000AC9C: D1CB0036 04049B36
	v_fma_f32 v55, v55, s77, v1                                // 00000000ACA4: D1CB0037 04049B37
	v_mul_f32_e32 v52, v52, v136                               // 00000000ACAC: 0A691134
	v_mul_f32_e32 v53, v53, v137                               // 00000000ACB0: 0A6B1335
	v_mul_f32_e32 v54, v54, v138                               // 00000000ACB4: 0A6D1536
	v_mul_f32_e32 v55, v55, v139                               // 00000000ACB8: 0A6F1737
	v_mul_f32_e64 v52, v52, s6                                 // 00000000ACBC: D1050034 00000D34
	v_mul_f32_e64 v53, v53, s6                                 // 00000000ACC4: D1050035 00000D35
	v_mul_f32_e64 v54, v54, s6                                 // 00000000ACCC: D1050036 00000D36
	v_mul_f32_e64 v55, v55, s6                                 // 00000000ACD4: D1050037 00000D37
	v_exp_f32_e32 v52, v52                                     // 00000000ACDC: 7E684134
	v_exp_f32_e32 v53, v53                                     // 00000000ACE0: 7E6A4135
	v_exp_f32_e32 v54, v54                                     // 00000000ACE4: 7E6C4136
	v_exp_f32_e32 v55, v55                                     // 00000000ACE8: 7E6E4137
	buffer_load_dwordx4 a[20:23], v43, s[12:15], 0 offen       // 00000000ACEC: E05C1000 8083142B
	v_add_f32_e64 v52, v52, 1.0                                // 00000000ACF4: D1010034 0001E534
	v_add_f32_e64 v53, v53, 1.0                                // 00000000ACFC: D1010035 0001E535
	v_add_f32_e64 v54, v54, 1.0                                // 00000000AD04: D1010036 0001E536
	v_add_f32_e64 v55, v55, 1.0                                // 00000000AD0C: D1010037 0001E537
	v_rcp_f32_e32 v52, v52                                     // 00000000AD14: 7E684534
	v_rcp_f32_e32 v53, v53                                     // 00000000AD18: 7E6A4535
	v_rcp_f32_e32 v54, v54                                     // 00000000AD1C: 7E6C4536
	v_rcp_f32_e32 v55, v55                                     // 00000000AD20: 7E6E4537
	v_mul_f32_e32 v136, v136, v52                              // 00000000AD24: 0B106988
	v_mul_f32_e32 v137, v137, v53                              // 00000000AD28: 0B126B89
	v_mul_f32_e32 v138, v138, v54                              // 00000000AD2C: 0B146D8A
	v_mul_f32_e32 v139, v139, v55                              // 00000000AD30: 0B166F8B
	v_mul_f32_e32 v136, v136, v72                              // 00000000AD34: 0B109188
	v_mul_f32_e32 v137, v137, v73                              // 00000000AD38: 0B129389
	v_mul_f32_e32 v138, v138, v74                              // 00000000AD3C: 0B14958A
	v_mul_f32_e32 v139, v139, v75                              // 00000000AD40: 0B16978B
	buffer_load_dwordx4 a[24:27], v44, s[12:15], 0 offen       // 00000000AD44: E05C1000 8083182C
	v_mul_f32_e32 v52, v140, v140                              // 00000000AD4C: 0A69198C
	v_mul_f32_e32 v53, v141, v141                              // 00000000AD50: 0A6B1B8D
	v_mul_f32_e32 v54, v142, v142                              // 00000000AD54: 0A6D1D8E
	v_mul_f32_e32 v55, v143, v143                              // 00000000AD58: 0A6F1F8F
	v_fma_f32 v52, v52, s77, v1                                // 00000000AD5C: D1CB0034 04049B34
	v_fma_f32 v53, v53, s77, v1                                // 00000000AD64: D1CB0035 04049B35
	v_fma_f32 v54, v54, s77, v1                                // 00000000AD6C: D1CB0036 04049B36
	v_fma_f32 v55, v55, s77, v1                                // 00000000AD74: D1CB0037 04049B37
	v_mul_f32_e32 v52, v52, v140                               // 00000000AD7C: 0A691934
	v_mul_f32_e32 v53, v53, v141                               // 00000000AD80: 0A6B1B35
	v_mul_f32_e32 v54, v54, v142                               // 00000000AD84: 0A6D1D36
	v_mul_f32_e32 v55, v55, v143                               // 00000000AD88: 0A6F1F37
	v_mul_f32_e64 v52, v52, s6                                 // 00000000AD8C: D1050034 00000D34
	v_mul_f32_e64 v53, v53, s6                                 // 00000000AD94: D1050035 00000D35
	v_mul_f32_e64 v54, v54, s6                                 // 00000000AD9C: D1050036 00000D36
	v_mul_f32_e64 v55, v55, s6                                 // 00000000ADA4: D1050037 00000D37
	v_exp_f32_e32 v52, v52                                     // 00000000ADAC: 7E684134
	v_exp_f32_e32 v53, v53                                     // 00000000ADB0: 7E6A4135
	v_exp_f32_e32 v54, v54                                     // 00000000ADB4: 7E6C4136
	v_exp_f32_e32 v55, v55                                     // 00000000ADB8: 7E6E4137
	buffer_load_dwordx4 a[28:31], v45, s[12:15], 0 offen       // 00000000ADBC: E05C1000 80831C2D
	s_add_u32 s12, s78, s12                                    // 00000000ADC4: 800C0C4E
	s_addc_u32 s13, 0, s13                                     // 00000000ADC8: 820D0D80
	v_add_f32_e64 v52, v52, 1.0                                // 00000000ADCC: D1010034 0001E534
	v_add_f32_e64 v53, v53, 1.0                                // 00000000ADD4: D1010035 0001E535
	v_add_f32_e64 v54, v54, 1.0                                // 00000000ADDC: D1010036 0001E536
	v_add_f32_e64 v55, v55, 1.0                                // 00000000ADE4: D1010037 0001E537
	v_rcp_f32_e32 v52, v52                                     // 00000000ADEC: 7E684534
	v_rcp_f32_e32 v53, v53                                     // 00000000ADF0: 7E6A4535
	v_rcp_f32_e32 v54, v54                                     // 00000000ADF4: 7E6C4536
	v_rcp_f32_e32 v55, v55                                     // 00000000ADF8: 7E6E4537
	v_mul_f32_e32 v140, v140, v52                              // 00000000ADFC: 0B18698C
	v_mul_f32_e32 v141, v141, v53                              // 00000000AE00: 0B1A6B8D
	v_mul_f32_e32 v142, v142, v54                              // 00000000AE04: 0B1C6D8E
	v_mul_f32_e32 v143, v143, v55                              // 00000000AE08: 0B1E6F8F
	v_mul_f32_e32 v140, v140, v76                              // 00000000AE0C: 0B18998C
	v_mul_f32_e32 v141, v141, v77                              // 00000000AE10: 0B1A9B8D
	v_mul_f32_e32 v142, v142, v78                              // 00000000AE14: 0B1C9D8E
	v_mul_f32_e32 v143, v143, v79                              // 00000000AE18: 0B1E9F8F
	s_waitcnt vmcnt(28)                                        // 00000000AE1C: BF8C4F7C
	buffer_load_dwordx4 a[32:35], v42, s[12:15], 0 offen       // 00000000AE20: E05C1000 8083202A
	v_mul_f32_e32 v52, v144, v144                              // 00000000AE28: 0A692190
	v_mul_f32_e32 v53, v145, v145                              // 00000000AE2C: 0A6B2391
	v_mul_f32_e32 v54, v146, v146                              // 00000000AE30: 0A6D2592
	v_mul_f32_e32 v55, v147, v147                              // 00000000AE34: 0A6F2793
	v_fma_f32 v52, v52, s77, v1                                // 00000000AE38: D1CB0034 04049B34
	v_fma_f32 v53, v53, s77, v1                                // 00000000AE40: D1CB0035 04049B35
	v_fma_f32 v54, v54, s77, v1                                // 00000000AE48: D1CB0036 04049B36
	v_fma_f32 v55, v55, s77, v1                                // 00000000AE50: D1CB0037 04049B37
	v_mul_f32_e32 v52, v52, v144                               // 00000000AE58: 0A692134
	v_mul_f32_e32 v53, v53, v145                               // 00000000AE5C: 0A6B2335
	v_mul_f32_e32 v54, v54, v146                               // 00000000AE60: 0A6D2536
	v_mul_f32_e32 v55, v55, v147                               // 00000000AE64: 0A6F2737
	v_mul_f32_e64 v52, v52, s6                                 // 00000000AE68: D1050034 00000D34
	v_mul_f32_e64 v53, v53, s6                                 // 00000000AE70: D1050035 00000D35
	v_mul_f32_e64 v54, v54, s6                                 // 00000000AE78: D1050036 00000D36
	v_mul_f32_e64 v55, v55, s6                                 // 00000000AE80: D1050037 00000D37
	v_exp_f32_e32 v52, v52                                     // 00000000AE88: 7E684134
	v_exp_f32_e32 v53, v53                                     // 00000000AE8C: 7E6A4135
	v_exp_f32_e32 v54, v54                                     // 00000000AE90: 7E6C4136
	v_exp_f32_e32 v55, v55                                     // 00000000AE94: 7E6E4137
	buffer_load_dwordx4 a[36:39], v43, s[12:15], 0 offen       // 00000000AE98: E05C1000 8083242B
	v_add_f32_e64 v52, v52, 1.0                                // 00000000AEA0: D1010034 0001E534
	v_add_f32_e64 v53, v53, 1.0                                // 00000000AEA8: D1010035 0001E535
	v_add_f32_e64 v54, v54, 1.0                                // 00000000AEB0: D1010036 0001E536
	v_add_f32_e64 v55, v55, 1.0                                // 00000000AEB8: D1010037 0001E537
	v_rcp_f32_e32 v52, v52                                     // 00000000AEC0: 7E684534
	v_rcp_f32_e32 v53, v53                                     // 00000000AEC4: 7E6A4535
	v_rcp_f32_e32 v54, v54                                     // 00000000AEC8: 7E6C4536
	v_rcp_f32_e32 v55, v55                                     // 00000000AECC: 7E6E4537
	v_mul_f32_e32 v144, v144, v52                              // 00000000AED0: 0B206990
	v_mul_f32_e32 v145, v145, v53                              // 00000000AED4: 0B226B91
	v_mul_f32_e32 v146, v146, v54                              // 00000000AED8: 0B246D92
	v_mul_f32_e32 v147, v147, v55                              // 00000000AEDC: 0B266F93
	v_mul_f32_e32 v144, v144, v80                              // 00000000AEE0: 0B20A190
	v_mul_f32_e32 v145, v145, v81                              // 00000000AEE4: 0B22A391
	v_mul_f32_e32 v146, v146, v82                              // 00000000AEE8: 0B24A592
	v_mul_f32_e32 v147, v147, v83                              // 00000000AEEC: 0B26A793
	buffer_load_dwordx4 a[40:43], v44, s[12:15], 0 offen       // 00000000AEF0: E05C1000 8083282C
	v_mul_f32_e32 v52, v148, v148                              // 00000000AEF8: 0A692994
	v_mul_f32_e32 v53, v149, v149                              // 00000000AEFC: 0A6B2B95
	v_mul_f32_e32 v54, v150, v150                              // 00000000AF00: 0A6D2D96
	v_mul_f32_e32 v55, v151, v151                              // 00000000AF04: 0A6F2F97
	v_fma_f32 v52, v52, s77, v1                                // 00000000AF08: D1CB0034 04049B34
	v_fma_f32 v53, v53, s77, v1                                // 00000000AF10: D1CB0035 04049B35
	v_fma_f32 v54, v54, s77, v1                                // 00000000AF18: D1CB0036 04049B36
	v_fma_f32 v55, v55, s77, v1                                // 00000000AF20: D1CB0037 04049B37
	v_mul_f32_e32 v52, v52, v148                               // 00000000AF28: 0A692934
	v_mul_f32_e32 v53, v53, v149                               // 00000000AF2C: 0A6B2B35
	v_mul_f32_e32 v54, v54, v150                               // 00000000AF30: 0A6D2D36
	v_mul_f32_e32 v55, v55, v151                               // 00000000AF34: 0A6F2F37
	v_mul_f32_e64 v52, v52, s6                                 // 00000000AF38: D1050034 00000D34
	v_mul_f32_e64 v53, v53, s6                                 // 00000000AF40: D1050035 00000D35
	v_mul_f32_e64 v54, v54, s6                                 // 00000000AF48: D1050036 00000D36
	v_mul_f32_e64 v55, v55, s6                                 // 00000000AF50: D1050037 00000D37
	v_exp_f32_e32 v52, v52                                     // 00000000AF58: 7E684134
	v_exp_f32_e32 v53, v53                                     // 00000000AF5C: 7E6A4135
	v_exp_f32_e32 v54, v54                                     // 00000000AF60: 7E6C4136
	v_exp_f32_e32 v55, v55                                     // 00000000AF64: 7E6E4137
	buffer_load_dwordx4 a[44:47], v45, s[12:15], 0 offen       // 00000000AF68: E05C1000 80832C2D
	s_add_u32 s12, s78, s12                                    // 00000000AF70: 800C0C4E
	s_addc_u32 s13, 0, s13                                     // 00000000AF74: 820D0D80
	v_add_f32_e64 v52, v52, 1.0                                // 00000000AF78: D1010034 0001E534
	v_add_f32_e64 v53, v53, 1.0                                // 00000000AF80: D1010035 0001E535
	v_add_f32_e64 v54, v54, 1.0                                // 00000000AF88: D1010036 0001E536
	v_add_f32_e64 v55, v55, 1.0                                // 00000000AF90: D1010037 0001E537
	v_rcp_f32_e32 v52, v52                                     // 00000000AF98: 7E684534
	v_rcp_f32_e32 v53, v53                                     // 00000000AF9C: 7E6A4535
	v_rcp_f32_e32 v54, v54                                     // 00000000AFA0: 7E6C4536
	v_rcp_f32_e32 v55, v55                                     // 00000000AFA4: 7E6E4537
	v_mul_f32_e32 v148, v148, v52                              // 00000000AFA8: 0B286994
	v_mul_f32_e32 v149, v149, v53                              // 00000000AFAC: 0B2A6B95
	v_mul_f32_e32 v150, v150, v54                              // 00000000AFB0: 0B2C6D96
	v_mul_f32_e32 v151, v151, v55                              // 00000000AFB4: 0B2E6F97
	v_mul_f32_e32 v148, v148, v84                              // 00000000AFB8: 0B28A994
	v_mul_f32_e32 v149, v149, v85                              // 00000000AFBC: 0B2AAB95
	v_mul_f32_e32 v150, v150, v86                              // 00000000AFC0: 0B2CAD96
	v_mul_f32_e32 v151, v151, v87                              // 00000000AFC4: 0B2EAF97
	s_waitcnt vmcnt(28)                                        // 00000000AFC8: BF8C4F7C
	buffer_load_dwordx4 a[48:51], v42, s[12:15], 0 offen       // 00000000AFCC: E05C1000 8083302A
	v_mul_f32_e32 v52, v152, v152                              // 00000000AFD4: 0A693198
	v_mul_f32_e32 v53, v153, v153                              // 00000000AFD8: 0A6B3399
	v_mul_f32_e32 v54, v154, v154                              // 00000000AFDC: 0A6D359A
	v_mul_f32_e32 v55, v155, v155                              // 00000000AFE0: 0A6F379B
	v_fma_f32 v52, v52, s77, v1                                // 00000000AFE4: D1CB0034 04049B34
	v_fma_f32 v53, v53, s77, v1                                // 00000000AFEC: D1CB0035 04049B35
	v_fma_f32 v54, v54, s77, v1                                // 00000000AFF4: D1CB0036 04049B36
	v_fma_f32 v55, v55, s77, v1                                // 00000000AFFC: D1CB0037 04049B37
	v_mul_f32_e32 v52, v52, v152                               // 00000000B004: 0A693134
	v_mul_f32_e32 v53, v53, v153                               // 00000000B008: 0A6B3335
	v_mul_f32_e32 v54, v54, v154                               // 00000000B00C: 0A6D3536
	v_mul_f32_e32 v55, v55, v155                               // 00000000B010: 0A6F3737
	v_mul_f32_e64 v52, v52, s6                                 // 00000000B014: D1050034 00000D34
	v_mul_f32_e64 v53, v53, s6                                 // 00000000B01C: D1050035 00000D35
	v_mul_f32_e64 v54, v54, s6                                 // 00000000B024: D1050036 00000D36
	v_mul_f32_e64 v55, v55, s6                                 // 00000000B02C: D1050037 00000D37
	v_exp_f32_e32 v52, v52                                     // 00000000B034: 7E684134
	v_exp_f32_e32 v53, v53                                     // 00000000B038: 7E6A4135
	v_exp_f32_e32 v54, v54                                     // 00000000B03C: 7E6C4136
	v_exp_f32_e32 v55, v55                                     // 00000000B040: 7E6E4137
	buffer_load_dwordx4 a[52:55], v43, s[12:15], 0 offen       // 00000000B044: E05C1000 8083342B
	v_add_f32_e64 v52, v52, 1.0                                // 00000000B04C: D1010034 0001E534
	v_add_f32_e64 v53, v53, 1.0                                // 00000000B054: D1010035 0001E535
	v_add_f32_e64 v54, v54, 1.0                                // 00000000B05C: D1010036 0001E536
	v_add_f32_e64 v55, v55, 1.0                                // 00000000B064: D1010037 0001E537
	v_rcp_f32_e32 v52, v52                                     // 00000000B06C: 7E684534
	v_rcp_f32_e32 v53, v53                                     // 00000000B070: 7E6A4535
	v_rcp_f32_e32 v54, v54                                     // 00000000B074: 7E6C4536
	v_rcp_f32_e32 v55, v55                                     // 00000000B078: 7E6E4537
	v_mul_f32_e32 v152, v152, v52                              // 00000000B07C: 0B306998
	v_mul_f32_e32 v153, v153, v53                              // 00000000B080: 0B326B99
	v_mul_f32_e32 v154, v154, v54                              // 00000000B084: 0B346D9A
	v_mul_f32_e32 v155, v155, v55                              // 00000000B088: 0B366F9B
	v_mul_f32_e32 v152, v152, v88                              // 00000000B08C: 0B30B198
	v_mul_f32_e32 v153, v153, v89                              // 00000000B090: 0B32B399
	v_mul_f32_e32 v154, v154, v90                              // 00000000B094: 0B34B59A
	v_mul_f32_e32 v155, v155, v91                              // 00000000B098: 0B36B79B
	buffer_load_dwordx4 a[56:59], v44, s[12:15], 0 offen       // 00000000B09C: E05C1000 8083382C
	v_mul_f32_e32 v52, v156, v156                              // 00000000B0A4: 0A69399C
	v_mul_f32_e32 v53, v157, v157                              // 00000000B0A8: 0A6B3B9D
	v_mul_f32_e32 v54, v158, v158                              // 00000000B0AC: 0A6D3D9E
	v_mul_f32_e32 v55, v159, v159                              // 00000000B0B0: 0A6F3F9F
	v_fma_f32 v52, v52, s77, v1                                // 00000000B0B4: D1CB0034 04049B34
	v_fma_f32 v53, v53, s77, v1                                // 00000000B0BC: D1CB0035 04049B35
	v_fma_f32 v54, v54, s77, v1                                // 00000000B0C4: D1CB0036 04049B36
	v_fma_f32 v55, v55, s77, v1                                // 00000000B0CC: D1CB0037 04049B37
	v_mul_f32_e32 v52, v52, v156                               // 00000000B0D4: 0A693934
	v_mul_f32_e32 v53, v53, v157                               // 00000000B0D8: 0A6B3B35
	v_mul_f32_e32 v54, v54, v158                               // 00000000B0DC: 0A6D3D36
	v_mul_f32_e32 v55, v55, v159                               // 00000000B0E0: 0A6F3F37
	v_mul_f32_e64 v52, v52, s6                                 // 00000000B0E4: D1050034 00000D34
	v_mul_f32_e64 v53, v53, s6                                 // 00000000B0EC: D1050035 00000D35
	v_mul_f32_e64 v54, v54, s6                                 // 00000000B0F4: D1050036 00000D36
	v_mul_f32_e64 v55, v55, s6                                 // 00000000B0FC: D1050037 00000D37
	v_exp_f32_e32 v52, v52                                     // 00000000B104: 7E684134
	v_exp_f32_e32 v53, v53                                     // 00000000B108: 7E6A4135
	v_exp_f32_e32 v54, v54                                     // 00000000B10C: 7E6C4136
	v_exp_f32_e32 v55, v55                                     // 00000000B110: 7E6E4137
	buffer_load_dwordx4 a[60:63], v45, s[12:15], 0 offen       // 00000000B114: E05C1000 80833C2D
	s_add_u32 s12, s78, s12                                    // 00000000B11C: 800C0C4E
	s_addc_u32 s13, 0, s13                                     // 00000000B120: 820D0D80
	v_add_f32_e64 v52, v52, 1.0                                // 00000000B124: D1010034 0001E534
	v_add_f32_e64 v53, v53, 1.0                                // 00000000B12C: D1010035 0001E535
	v_add_f32_e64 v54, v54, 1.0                                // 00000000B134: D1010036 0001E536
	v_add_f32_e64 v55, v55, 1.0                                // 00000000B13C: D1010037 0001E537
	v_rcp_f32_e32 v52, v52                                     // 00000000B144: 7E684534
	v_rcp_f32_e32 v53, v53                                     // 00000000B148: 7E6A4535
	v_rcp_f32_e32 v54, v54                                     // 00000000B14C: 7E6C4536
	v_rcp_f32_e32 v55, v55                                     // 00000000B150: 7E6E4537
	v_mul_f32_e32 v156, v156, v52                              // 00000000B154: 0B38699C
	v_mul_f32_e32 v157, v157, v53                              // 00000000B158: 0B3A6B9D
	v_mul_f32_e32 v158, v158, v54                              // 00000000B15C: 0B3C6D9E
	v_mul_f32_e32 v159, v159, v55                              // 00000000B160: 0B3E6F9F
	v_mul_f32_e32 v156, v156, v92                              // 00000000B164: 0B38B99C
	v_mul_f32_e32 v157, v157, v93                              // 00000000B168: 0B3ABB9D
	v_mul_f32_e32 v158, v158, v94                              // 00000000B16C: 0B3CBD9E
	v_mul_f32_e32 v159, v159, v95                              // 00000000B170: 0B3EBF9F
	s_waitcnt vmcnt(28)                                        // 00000000B174: BF8C4F7C
	buffer_load_dwordx4 a[64:67], v42, s[12:15], 0 offen       // 00000000B178: E05C1000 8083402A
	v_mul_f32_e32 v52, v160, v160                              // 00000000B180: 0A6941A0
	v_mul_f32_e32 v53, v161, v161                              // 00000000B184: 0A6B43A1
	v_mul_f32_e32 v54, v162, v162                              // 00000000B188: 0A6D45A2
	v_mul_f32_e32 v55, v163, v163                              // 00000000B18C: 0A6F47A3
	v_fma_f32 v52, v52, s77, v1                                // 00000000B190: D1CB0034 04049B34
	v_fma_f32 v53, v53, s77, v1                                // 00000000B198: D1CB0035 04049B35
	v_fma_f32 v54, v54, s77, v1                                // 00000000B1A0: D1CB0036 04049B36
	v_fma_f32 v55, v55, s77, v1                                // 00000000B1A8: D1CB0037 04049B37
	v_mul_f32_e32 v52, v52, v160                               // 00000000B1B0: 0A694134
	v_mul_f32_e32 v53, v53, v161                               // 00000000B1B4: 0A6B4335
	v_mul_f32_e32 v54, v54, v162                               // 00000000B1B8: 0A6D4536
	v_mul_f32_e32 v55, v55, v163                               // 00000000B1BC: 0A6F4737
	v_mul_f32_e64 v52, v52, s6                                 // 00000000B1C0: D1050034 00000D34
	v_mul_f32_e64 v53, v53, s6                                 // 00000000B1C8: D1050035 00000D35
	v_mul_f32_e64 v54, v54, s6                                 // 00000000B1D0: D1050036 00000D36
	v_mul_f32_e64 v55, v55, s6                                 // 00000000B1D8: D1050037 00000D37
	v_exp_f32_e32 v52, v52                                     // 00000000B1E0: 7E684134
	v_exp_f32_e32 v53, v53                                     // 00000000B1E4: 7E6A4135
	v_exp_f32_e32 v54, v54                                     // 00000000B1E8: 7E6C4136
	v_exp_f32_e32 v55, v55                                     // 00000000B1EC: 7E6E4137
	buffer_load_dwordx4 a[68:71], v43, s[12:15], 0 offen       // 00000000B1F0: E05C1000 8083442B
	v_add_f32_e64 v52, v52, 1.0                                // 00000000B1F8: D1010034 0001E534
	v_add_f32_e64 v53, v53, 1.0                                // 00000000B200: D1010035 0001E535
	v_add_f32_e64 v54, v54, 1.0                                // 00000000B208: D1010036 0001E536
	v_add_f32_e64 v55, v55, 1.0                                // 00000000B210: D1010037 0001E537
	v_rcp_f32_e32 v52, v52                                     // 00000000B218: 7E684534
	v_rcp_f32_e32 v53, v53                                     // 00000000B21C: 7E6A4535
	v_rcp_f32_e32 v54, v54                                     // 00000000B220: 7E6C4536
	v_rcp_f32_e32 v55, v55                                     // 00000000B224: 7E6E4537
	v_mul_f32_e32 v160, v160, v52                              // 00000000B228: 0B4069A0
	v_mul_f32_e32 v161, v161, v53                              // 00000000B22C: 0B426BA1
	v_mul_f32_e32 v162, v162, v54                              // 00000000B230: 0B446DA2
	v_mul_f32_e32 v163, v163, v55                              // 00000000B234: 0B466FA3
	v_mul_f32_e32 v160, v160, v96                              // 00000000B238: 0B40C1A0
	v_mul_f32_e32 v161, v161, v97                              // 00000000B23C: 0B42C3A1
	v_mul_f32_e32 v162, v162, v98                              // 00000000B240: 0B44C5A2
	v_mul_f32_e32 v163, v163, v99                              // 00000000B244: 0B46C7A3
	buffer_load_dwordx4 a[72:75], v44, s[12:15], 0 offen       // 00000000B248: E05C1000 8083482C
	v_mul_f32_e32 v52, v164, v164                              // 00000000B250: 0A6949A4
	v_mul_f32_e32 v53, v165, v165                              // 00000000B254: 0A6B4BA5
	v_mul_f32_e32 v54, v166, v166                              // 00000000B258: 0A6D4DA6
	v_mul_f32_e32 v55, v167, v167                              // 00000000B25C: 0A6F4FA7
	v_fma_f32 v52, v52, s77, v1                                // 00000000B260: D1CB0034 04049B34
	v_fma_f32 v53, v53, s77, v1                                // 00000000B268: D1CB0035 04049B35
	v_fma_f32 v54, v54, s77, v1                                // 00000000B270: D1CB0036 04049B36
	v_fma_f32 v55, v55, s77, v1                                // 00000000B278: D1CB0037 04049B37
	v_mul_f32_e32 v52, v52, v164                               // 00000000B280: 0A694934
	v_mul_f32_e32 v53, v53, v165                               // 00000000B284: 0A6B4B35
	v_mul_f32_e32 v54, v54, v166                               // 00000000B288: 0A6D4D36
	v_mul_f32_e32 v55, v55, v167                               // 00000000B28C: 0A6F4F37
	v_mul_f32_e64 v52, v52, s6                                 // 00000000B290: D1050034 00000D34
	v_mul_f32_e64 v53, v53, s6                                 // 00000000B298: D1050035 00000D35
	v_mul_f32_e64 v54, v54, s6                                 // 00000000B2A0: D1050036 00000D36
	v_mul_f32_e64 v55, v55, s6                                 // 00000000B2A8: D1050037 00000D37
	v_exp_f32_e32 v52, v52                                     // 00000000B2B0: 7E684134
	v_exp_f32_e32 v53, v53                                     // 00000000B2B4: 7E6A4135
	v_exp_f32_e32 v54, v54                                     // 00000000B2B8: 7E6C4136
	v_exp_f32_e32 v55, v55                                     // 00000000B2BC: 7E6E4137
	buffer_load_dwordx4 a[76:79], v45, s[12:15], 0 offen       // 00000000B2C0: E05C1000 80834C2D
	s_add_u32 s12, s78, s12                                    // 00000000B2C8: 800C0C4E
	s_addc_u32 s13, 0, s13                                     // 00000000B2CC: 820D0D80
	v_add_f32_e64 v52, v52, 1.0                                // 00000000B2D0: D1010034 0001E534
	v_add_f32_e64 v53, v53, 1.0                                // 00000000B2D8: D1010035 0001E535
	v_add_f32_e64 v54, v54, 1.0                                // 00000000B2E0: D1010036 0001E536
	v_add_f32_e64 v55, v55, 1.0                                // 00000000B2E8: D1010037 0001E537
	v_rcp_f32_e32 v52, v52                                     // 00000000B2F0: 7E684534
	v_rcp_f32_e32 v53, v53                                     // 00000000B2F4: 7E6A4535
	v_rcp_f32_e32 v54, v54                                     // 00000000B2F8: 7E6C4536
	v_rcp_f32_e32 v55, v55                                     // 00000000B2FC: 7E6E4537
	v_mul_f32_e32 v164, v164, v52                              // 00000000B300: 0B4869A4
	v_mul_f32_e32 v165, v165, v53                              // 00000000B304: 0B4A6BA5
	v_mul_f32_e32 v166, v166, v54                              // 00000000B308: 0B4C6DA6
	v_mul_f32_e32 v167, v167, v55                              // 00000000B30C: 0B4E6FA7
	v_mul_f32_e32 v164, v164, v100                             // 00000000B310: 0B48C9A4
	v_mul_f32_e32 v165, v165, v101                             // 00000000B314: 0B4ACBA5
	v_mul_f32_e32 v166, v166, v102                             // 00000000B318: 0B4CCDA6
	v_mul_f32_e32 v167, v167, v103                             // 00000000B31C: 0B4ECFA7
	s_waitcnt vmcnt(28)                                        // 00000000B320: BF8C4F7C
	buffer_load_dwordx4 a[80:83], v42, s[12:15], 0 offen       // 00000000B324: E05C1000 8083502A
	v_mul_f32_e32 v52, v168, v168                              // 00000000B32C: 0A6951A8
	v_mul_f32_e32 v53, v169, v169                              // 00000000B330: 0A6B53A9
	v_mul_f32_e32 v54, v170, v170                              // 00000000B334: 0A6D55AA
	v_mul_f32_e32 v55, v171, v171                              // 00000000B338: 0A6F57AB
	v_fma_f32 v52, v52, s77, v1                                // 00000000B33C: D1CB0034 04049B34
	v_fma_f32 v53, v53, s77, v1                                // 00000000B344: D1CB0035 04049B35
	v_fma_f32 v54, v54, s77, v1                                // 00000000B34C: D1CB0036 04049B36
	v_fma_f32 v55, v55, s77, v1                                // 00000000B354: D1CB0037 04049B37
	v_mul_f32_e32 v52, v52, v168                               // 00000000B35C: 0A695134
	v_mul_f32_e32 v53, v53, v169                               // 00000000B360: 0A6B5335
	v_mul_f32_e32 v54, v54, v170                               // 00000000B364: 0A6D5536
	v_mul_f32_e32 v55, v55, v171                               // 00000000B368: 0A6F5737
	v_mul_f32_e64 v52, v52, s6                                 // 00000000B36C: D1050034 00000D34
	v_mul_f32_e64 v53, v53, s6                                 // 00000000B374: D1050035 00000D35
	v_mul_f32_e64 v54, v54, s6                                 // 00000000B37C: D1050036 00000D36
	v_mul_f32_e64 v55, v55, s6                                 // 00000000B384: D1050037 00000D37
	v_exp_f32_e32 v52, v52                                     // 00000000B38C: 7E684134
	v_exp_f32_e32 v53, v53                                     // 00000000B390: 7E6A4135
	v_exp_f32_e32 v54, v54                                     // 00000000B394: 7E6C4136
	v_exp_f32_e32 v55, v55                                     // 00000000B398: 7E6E4137
	buffer_load_dwordx4 a[84:87], v43, s[12:15], 0 offen       // 00000000B39C: E05C1000 8083542B
	v_add_f32_e64 v52, v52, 1.0                                // 00000000B3A4: D1010034 0001E534
	v_add_f32_e64 v53, v53, 1.0                                // 00000000B3AC: D1010035 0001E535
	v_add_f32_e64 v54, v54, 1.0                                // 00000000B3B4: D1010036 0001E536
	v_add_f32_e64 v55, v55, 1.0                                // 00000000B3BC: D1010037 0001E537
	v_rcp_f32_e32 v52, v52                                     // 00000000B3C4: 7E684534
	v_rcp_f32_e32 v53, v53                                     // 00000000B3C8: 7E6A4535
	v_rcp_f32_e32 v54, v54                                     // 00000000B3CC: 7E6C4536
	v_rcp_f32_e32 v55, v55                                     // 00000000B3D0: 7E6E4537
	v_mul_f32_e32 v168, v168, v52                              // 00000000B3D4: 0B5069A8
	v_mul_f32_e32 v169, v169, v53                              // 00000000B3D8: 0B526BA9
	v_mul_f32_e32 v170, v170, v54                              // 00000000B3DC: 0B546DAA
	v_mul_f32_e32 v171, v171, v55                              // 00000000B3E0: 0B566FAB
	v_mul_f32_e32 v168, v168, v104                             // 00000000B3E4: 0B50D1A8
	v_mul_f32_e32 v169, v169, v105                             // 00000000B3E8: 0B52D3A9
	v_mul_f32_e32 v170, v170, v106                             // 00000000B3EC: 0B54D5AA
	v_mul_f32_e32 v171, v171, v107                             // 00000000B3F0: 0B56D7AB
	buffer_load_dwordx4 a[88:91], v44, s[12:15], 0 offen       // 00000000B3F4: E05C1000 8083582C
	v_mul_f32_e32 v52, v172, v172                              // 00000000B3FC: 0A6959AC
	v_mul_f32_e32 v53, v173, v173                              // 00000000B400: 0A6B5BAD
	v_mul_f32_e32 v54, v174, v174                              // 00000000B404: 0A6D5DAE
	v_mul_f32_e32 v55, v175, v175                              // 00000000B408: 0A6F5FAF
	v_fma_f32 v52, v52, s77, v1                                // 00000000B40C: D1CB0034 04049B34
	v_fma_f32 v53, v53, s77, v1                                // 00000000B414: D1CB0035 04049B35
	v_fma_f32 v54, v54, s77, v1                                // 00000000B41C: D1CB0036 04049B36
	v_fma_f32 v55, v55, s77, v1                                // 00000000B424: D1CB0037 04049B37
	v_mul_f32_e32 v52, v52, v172                               // 00000000B42C: 0A695934
	v_mul_f32_e32 v53, v53, v173                               // 00000000B430: 0A6B5B35
	v_mul_f32_e32 v54, v54, v174                               // 00000000B434: 0A6D5D36
	v_mul_f32_e32 v55, v55, v175                               // 00000000B438: 0A6F5F37
	v_mul_f32_e64 v52, v52, s6                                 // 00000000B43C: D1050034 00000D34
	v_mul_f32_e64 v53, v53, s6                                 // 00000000B444: D1050035 00000D35
	v_mul_f32_e64 v54, v54, s6                                 // 00000000B44C: D1050036 00000D36
	v_mul_f32_e64 v55, v55, s6                                 // 00000000B454: D1050037 00000D37
	v_exp_f32_e32 v52, v52                                     // 00000000B45C: 7E684134
	v_exp_f32_e32 v53, v53                                     // 00000000B460: 7E6A4135
	v_exp_f32_e32 v54, v54                                     // 00000000B464: 7E6C4136
	v_exp_f32_e32 v55, v55                                     // 00000000B468: 7E6E4137
	buffer_load_dwordx4 a[92:95], v45, s[12:15], 0 offen       // 00000000B46C: E05C1000 80835C2D
	s_add_u32 s12, s78, s12                                    // 00000000B474: 800C0C4E
	s_addc_u32 s13, 0, s13                                     // 00000000B478: 820D0D80
	v_add_f32_e64 v52, v52, 1.0                                // 00000000B47C: D1010034 0001E534
	v_add_f32_e64 v53, v53, 1.0                                // 00000000B484: D1010035 0001E535
	v_add_f32_e64 v54, v54, 1.0                                // 00000000B48C: D1010036 0001E536
	v_add_f32_e64 v55, v55, 1.0                                // 00000000B494: D1010037 0001E537
	v_rcp_f32_e32 v52, v52                                     // 00000000B49C: 7E684534
	v_rcp_f32_e32 v53, v53                                     // 00000000B4A0: 7E6A4535
	v_rcp_f32_e32 v54, v54                                     // 00000000B4A4: 7E6C4536
	v_rcp_f32_e32 v55, v55                                     // 00000000B4A8: 7E6E4537
	v_mul_f32_e32 v172, v172, v52                              // 00000000B4AC: 0B5869AC
	v_mul_f32_e32 v173, v173, v53                              // 00000000B4B0: 0B5A6BAD
	v_mul_f32_e32 v174, v174, v54                              // 00000000B4B4: 0B5C6DAE
	v_mul_f32_e32 v175, v175, v55                              // 00000000B4B8: 0B5E6FAF
	v_mul_f32_e32 v172, v172, v108                             // 00000000B4BC: 0B58D9AC
	v_mul_f32_e32 v173, v173, v109                             // 00000000B4C0: 0B5ADBAD
	v_mul_f32_e32 v174, v174, v110                             // 00000000B4C4: 0B5CDDAE
	v_mul_f32_e32 v175, v175, v111                             // 00000000B4C8: 0B5EDFAF
	s_waitcnt vmcnt(28)                                        // 00000000B4CC: BF8C4F7C
	buffer_load_dwordx4 a[96:99], v42, s[12:15], 0 offen       // 00000000B4D0: E05C1000 8083602A
	v_mul_f32_e32 v52, v176, v176                              // 00000000B4D8: 0A6961B0
	v_mul_f32_e32 v53, v177, v177                              // 00000000B4DC: 0A6B63B1
	v_mul_f32_e32 v54, v178, v178                              // 00000000B4E0: 0A6D65B2
	v_mul_f32_e32 v55, v179, v179                              // 00000000B4E4: 0A6F67B3
	v_fma_f32 v52, v52, s77, v1                                // 00000000B4E8: D1CB0034 04049B34
	v_fma_f32 v53, v53, s77, v1                                // 00000000B4F0: D1CB0035 04049B35
	v_fma_f32 v54, v54, s77, v1                                // 00000000B4F8: D1CB0036 04049B36
	v_fma_f32 v55, v55, s77, v1                                // 00000000B500: D1CB0037 04049B37
	v_mul_f32_e32 v52, v52, v176                               // 00000000B508: 0A696134
	v_mul_f32_e32 v53, v53, v177                               // 00000000B50C: 0A6B6335
	v_mul_f32_e32 v54, v54, v178                               // 00000000B510: 0A6D6536
	v_mul_f32_e32 v55, v55, v179                               // 00000000B514: 0A6F6737
	v_mul_f32_e64 v52, v52, s6                                 // 00000000B518: D1050034 00000D34
	v_mul_f32_e64 v53, v53, s6                                 // 00000000B520: D1050035 00000D35
	v_mul_f32_e64 v54, v54, s6                                 // 00000000B528: D1050036 00000D36
	v_mul_f32_e64 v55, v55, s6                                 // 00000000B530: D1050037 00000D37
	v_exp_f32_e32 v52, v52                                     // 00000000B538: 7E684134
	v_exp_f32_e32 v53, v53                                     // 00000000B53C: 7E6A4135
	v_exp_f32_e32 v54, v54                                     // 00000000B540: 7E6C4136
	v_exp_f32_e32 v55, v55                                     // 00000000B544: 7E6E4137
	buffer_load_dwordx4 a[100:103], v43, s[12:15], 0 offen     // 00000000B548: E05C1000 8083642B
	v_add_f32_e64 v52, v52, 1.0                                // 00000000B550: D1010034 0001E534
	v_add_f32_e64 v53, v53, 1.0                                // 00000000B558: D1010035 0001E535
	v_add_f32_e64 v54, v54, 1.0                                // 00000000B560: D1010036 0001E536
	v_add_f32_e64 v55, v55, 1.0                                // 00000000B568: D1010037 0001E537
	v_rcp_f32_e32 v52, v52                                     // 00000000B570: 7E684534
	v_rcp_f32_e32 v53, v53                                     // 00000000B574: 7E6A4535
	v_rcp_f32_e32 v54, v54                                     // 00000000B578: 7E6C4536
	v_rcp_f32_e32 v55, v55                                     // 00000000B57C: 7E6E4537
	v_mul_f32_e32 v176, v176, v52                              // 00000000B580: 0B6069B0
	v_mul_f32_e32 v177, v177, v53                              // 00000000B584: 0B626BB1
	v_mul_f32_e32 v178, v178, v54                              // 00000000B588: 0B646DB2
	v_mul_f32_e32 v179, v179, v55                              // 00000000B58C: 0B666FB3
	v_mul_f32_e32 v176, v176, v112                             // 00000000B590: 0B60E1B0
	v_mul_f32_e32 v177, v177, v113                             // 00000000B594: 0B62E3B1
	v_mul_f32_e32 v178, v178, v114                             // 00000000B598: 0B64E5B2
	v_mul_f32_e32 v179, v179, v115                             // 00000000B59C: 0B66E7B3
	buffer_load_dwordx4 a[104:107], v44, s[12:15], 0 offen     // 00000000B5A0: E05C1000 8083682C
	v_mul_f32_e32 v52, v180, v180                              // 00000000B5A8: 0A6969B4
	v_mul_f32_e32 v53, v181, v181                              // 00000000B5AC: 0A6B6BB5
	v_mul_f32_e32 v54, v182, v182                              // 00000000B5B0: 0A6D6DB6
	v_mul_f32_e32 v55, v183, v183                              // 00000000B5B4: 0A6F6FB7
	v_fma_f32 v52, v52, s77, v1                                // 00000000B5B8: D1CB0034 04049B34
	v_fma_f32 v53, v53, s77, v1                                // 00000000B5C0: D1CB0035 04049B35
	v_fma_f32 v54, v54, s77, v1                                // 00000000B5C8: D1CB0036 04049B36
	v_fma_f32 v55, v55, s77, v1                                // 00000000B5D0: D1CB0037 04049B37
	v_mul_f32_e32 v52, v52, v180                               // 00000000B5D8: 0A696934
	v_mul_f32_e32 v53, v53, v181                               // 00000000B5DC: 0A6B6B35
	v_mul_f32_e32 v54, v54, v182                               // 00000000B5E0: 0A6D6D36
	v_mul_f32_e32 v55, v55, v183                               // 00000000B5E4: 0A6F6F37
	v_mul_f32_e64 v52, v52, s6                                 // 00000000B5E8: D1050034 00000D34
	v_mul_f32_e64 v53, v53, s6                                 // 00000000B5F0: D1050035 00000D35
	v_mul_f32_e64 v54, v54, s6                                 // 00000000B5F8: D1050036 00000D36
	v_mul_f32_e64 v55, v55, s6                                 // 00000000B600: D1050037 00000D37
	v_exp_f32_e32 v52, v52                                     // 00000000B608: 7E684134
	v_exp_f32_e32 v53, v53                                     // 00000000B60C: 7E6A4135
	v_exp_f32_e32 v54, v54                                     // 00000000B610: 7E6C4136
	v_exp_f32_e32 v55, v55                                     // 00000000B614: 7E6E4137
	buffer_load_dwordx4 a[108:111], v45, s[12:15], 0 offen     // 00000000B618: E05C1000 80836C2D
	s_add_u32 s12, s78, s12                                    // 00000000B620: 800C0C4E
	s_addc_u32 s13, 0, s13                                     // 00000000B624: 820D0D80
	v_add_f32_e64 v52, v52, 1.0                                // 00000000B628: D1010034 0001E534
	v_add_f32_e64 v53, v53, 1.0                                // 00000000B630: D1010035 0001E535
	v_add_f32_e64 v54, v54, 1.0                                // 00000000B638: D1010036 0001E536
	v_add_f32_e64 v55, v55, 1.0                                // 00000000B640: D1010037 0001E537
	v_rcp_f32_e32 v52, v52                                     // 00000000B648: 7E684534
	v_rcp_f32_e32 v53, v53                                     // 00000000B64C: 7E6A4535
	v_rcp_f32_e32 v54, v54                                     // 00000000B650: 7E6C4536
	v_rcp_f32_e32 v55, v55                                     // 00000000B654: 7E6E4537
	v_mul_f32_e32 v180, v180, v52                              // 00000000B658: 0B6869B4
	v_mul_f32_e32 v181, v181, v53                              // 00000000B65C: 0B6A6BB5
	v_mul_f32_e32 v182, v182, v54                              // 00000000B660: 0B6C6DB6
	v_mul_f32_e32 v183, v183, v55                              // 00000000B664: 0B6E6FB7
	v_mul_f32_e32 v180, v180, v116                             // 00000000B668: 0B68E9B4
	v_mul_f32_e32 v181, v181, v117                             // 00000000B66C: 0B6AEBB5
	v_mul_f32_e32 v182, v182, v118                             // 00000000B670: 0B6CEDB6
	v_mul_f32_e32 v183, v183, v119                             // 00000000B674: 0B6EEFB7
	s_waitcnt vmcnt(28)                                        // 00000000B678: BF8C4F7C
	buffer_load_dwordx4 a[112:115], v42, s[12:15], 0 offen     // 00000000B67C: E05C1000 8083702A
	v_mul_f32_e32 v52, v184, v184                              // 00000000B684: 0A6971B8
	v_mul_f32_e32 v53, v185, v185                              // 00000000B688: 0A6B73B9
	v_mul_f32_e32 v54, v186, v186                              // 00000000B68C: 0A6D75BA
	v_mul_f32_e32 v55, v187, v187                              // 00000000B690: 0A6F77BB
	v_fma_f32 v52, v52, s77, v1                                // 00000000B694: D1CB0034 04049B34
	v_fma_f32 v53, v53, s77, v1                                // 00000000B69C: D1CB0035 04049B35
	v_fma_f32 v54, v54, s77, v1                                // 00000000B6A4: D1CB0036 04049B36
	v_fma_f32 v55, v55, s77, v1                                // 00000000B6AC: D1CB0037 04049B37
	v_mul_f32_e32 v52, v52, v184                               // 00000000B6B4: 0A697134
	v_mul_f32_e32 v53, v53, v185                               // 00000000B6B8: 0A6B7335
	v_mul_f32_e32 v54, v54, v186                               // 00000000B6BC: 0A6D7536
	v_mul_f32_e32 v55, v55, v187                               // 00000000B6C0: 0A6F7737
	v_mul_f32_e64 v52, v52, s6                                 // 00000000B6C4: D1050034 00000D34
	v_mul_f32_e64 v53, v53, s6                                 // 00000000B6CC: D1050035 00000D35
	v_mul_f32_e64 v54, v54, s6                                 // 00000000B6D4: D1050036 00000D36
	v_mul_f32_e64 v55, v55, s6                                 // 00000000B6DC: D1050037 00000D37
	v_exp_f32_e32 v52, v52                                     // 00000000B6E4: 7E684134
	v_exp_f32_e32 v53, v53                                     // 00000000B6E8: 7E6A4135
	v_exp_f32_e32 v54, v54                                     // 00000000B6EC: 7E6C4136
	v_exp_f32_e32 v55, v55                                     // 00000000B6F0: 7E6E4137
	buffer_load_dwordx4 a[116:119], v43, s[12:15], 0 offen     // 00000000B6F4: E05C1000 8083742B
	v_add_f32_e64 v52, v52, 1.0                                // 00000000B6FC: D1010034 0001E534
	v_add_f32_e64 v53, v53, 1.0                                // 00000000B704: D1010035 0001E535
	v_add_f32_e64 v54, v54, 1.0                                // 00000000B70C: D1010036 0001E536
	v_add_f32_e64 v55, v55, 1.0                                // 00000000B714: D1010037 0001E537
	v_rcp_f32_e32 v52, v52                                     // 00000000B71C: 7E684534
	v_rcp_f32_e32 v53, v53                                     // 00000000B720: 7E6A4535
	v_rcp_f32_e32 v54, v54                                     // 00000000B724: 7E6C4536
	v_rcp_f32_e32 v55, v55                                     // 00000000B728: 7E6E4537
	v_mul_f32_e32 v184, v184, v52                              // 00000000B72C: 0B7069B8
	v_mul_f32_e32 v185, v185, v53                              // 00000000B730: 0B726BB9
	v_mul_f32_e32 v186, v186, v54                              // 00000000B734: 0B746DBA
	v_mul_f32_e32 v187, v187, v55                              // 00000000B738: 0B766FBB
	v_mul_f32_e32 v184, v184, v120                             // 00000000B73C: 0B70F1B8
	v_mul_f32_e32 v185, v185, v121                             // 00000000B740: 0B72F3B9
	v_mul_f32_e32 v186, v186, v122                             // 00000000B744: 0B74F5BA
	v_mul_f32_e32 v187, v187, v123                             // 00000000B748: 0B76F7BB
	buffer_load_dwordx4 a[120:123], v44, s[12:15], 0 offen     // 00000000B74C: E05C1000 8083782C
	v_mul_f32_e32 v52, v188, v188                              // 00000000B754: 0A6979BC
	v_mul_f32_e32 v53, v189, v189                              // 00000000B758: 0A6B7BBD
	v_mul_f32_e32 v54, v190, v190                              // 00000000B75C: 0A6D7DBE
	v_mul_f32_e32 v55, v191, v191                              // 00000000B760: 0A6F7FBF
	v_fma_f32 v52, v52, s77, v1                                // 00000000B764: D1CB0034 04049B34
	v_fma_f32 v53, v53, s77, v1                                // 00000000B76C: D1CB0035 04049B35
	v_fma_f32 v54, v54, s77, v1                                // 00000000B774: D1CB0036 04049B36
	v_fma_f32 v55, v55, s77, v1                                // 00000000B77C: D1CB0037 04049B37
	v_mul_f32_e32 v52, v52, v188                               // 00000000B784: 0A697934
	v_mul_f32_e32 v53, v53, v189                               // 00000000B788: 0A6B7B35
	v_mul_f32_e32 v54, v54, v190                               // 00000000B78C: 0A6D7D36
	v_mul_f32_e32 v55, v55, v191                               // 00000000B790: 0A6F7F37
	v_mul_f32_e64 v52, v52, s6                                 // 00000000B794: D1050034 00000D34
	v_mul_f32_e64 v53, v53, s6                                 // 00000000B79C: D1050035 00000D35
	v_mul_f32_e64 v54, v54, s6                                 // 00000000B7A4: D1050036 00000D36
	v_mul_f32_e64 v55, v55, s6                                 // 00000000B7AC: D1050037 00000D37
	v_exp_f32_e32 v52, v52                                     // 00000000B7B4: 7E684134
	v_exp_f32_e32 v53, v53                                     // 00000000B7B8: 7E6A4135
	v_exp_f32_e32 v54, v54                                     // 00000000B7BC: 7E6C4136
	v_exp_f32_e32 v55, v55                                     // 00000000B7C0: 7E6E4137
	buffer_load_dwordx4 a[124:127], v45, s[12:15], 0 offen     // 00000000B7C4: E05C1000 80837C2D
	v_add_f32_e64 v52, v52, 1.0                                // 00000000B7CC: D1010034 0001E534
	v_add_f32_e64 v53, v53, 1.0                                // 00000000B7D4: D1010035 0001E535
	v_add_f32_e64 v54, v54, 1.0                                // 00000000B7DC: D1010036 0001E536
	v_add_f32_e64 v55, v55, 1.0                                // 00000000B7E4: D1010037 0001E537
	v_rcp_f32_e32 v52, v52                                     // 00000000B7EC: 7E684534
	v_rcp_f32_e32 v53, v53                                     // 00000000B7F0: 7E6A4535
	v_rcp_f32_e32 v54, v54                                     // 00000000B7F4: 7E6C4536
	v_rcp_f32_e32 v55, v55                                     // 00000000B7F8: 7E6E4537
	v_mul_f32_e32 v188, v188, v52                              // 00000000B7FC: 0B7869BC
	v_mul_f32_e32 v189, v189, v53                              // 00000000B800: 0B7A6BBD
	v_mul_f32_e32 v190, v190, v54                              // 00000000B804: 0B7C6DBE
	v_mul_f32_e32 v191, v191, v55                              // 00000000B808: 0B7E6FBF
	v_mul_f32_e32 v188, v188, v124                             // 00000000B80C: 0B78F9BC
	v_mul_f32_e32 v189, v189, v125                             // 00000000B810: 0B7AFBBD
	v_mul_f32_e32 v190, v190, v126                             // 00000000B814: 0B7CFDBE
	v_mul_f32_e32 v191, v191, v127                             // 00000000B818: 0B7EFFBF
	v_mul_f32_dpp v128, v18, v128 row_newbcast:0 row_mask:0xf bank_mask:0xf// 00000000B81C: 0B0100FA FF015012
	v_mul_f32_dpp v129, v18, v129 row_newbcast:1 row_mask:0xf bank_mask:0xf// 00000000B824: 0B0302FA FF015112
	v_mul_f32_dpp v130, v18, v130 row_newbcast:2 row_mask:0xf bank_mask:0xf// 00000000B82C: 0B0504FA FF015212
	v_mul_f32_dpp v131, v18, v131 row_newbcast:3 row_mask:0xf bank_mask:0xf// 00000000B834: 0B0706FA FF015312
	v_mul_f32_dpp v132, v18, v132 row_newbcast:0 row_mask:0xf bank_mask:0xf// 00000000B83C: 0B0908FA FF015012
	v_mul_f32_dpp v133, v18, v133 row_newbcast:1 row_mask:0xf bank_mask:0xf// 00000000B844: 0B0B0AFA FF015112
	v_mul_f32_dpp v134, v18, v134 row_newbcast:2 row_mask:0xf bank_mask:0xf// 00000000B84C: 0B0D0CFA FF015212
	v_mul_f32_dpp v135, v18, v135 row_newbcast:3 row_mask:0xf bank_mask:0xf// 00000000B854: 0B0F0EFA FF015312
	v_mul_f32_dpp v136, v18, v136 row_newbcast:4 row_mask:0xf bank_mask:0xf// 00000000B85C: 0B1110FA FF015412
	v_mul_f32_dpp v137, v18, v137 row_newbcast:5 row_mask:0xf bank_mask:0xf// 00000000B864: 0B1312FA FF015512
	v_mul_f32_dpp v138, v18, v138 row_newbcast:6 row_mask:0xf bank_mask:0xf// 00000000B86C: 0B1514FA FF015612
	v_mul_f32_dpp v139, v18, v139 row_newbcast:7 row_mask:0xf bank_mask:0xf// 00000000B874: 0B1716FA FF015712
	v_mul_f32_dpp v140, v18, v140 row_newbcast:4 row_mask:0xf bank_mask:0xf// 00000000B87C: 0B1918FA FF015412
	v_mul_f32_dpp v141, v18, v141 row_newbcast:5 row_mask:0xf bank_mask:0xf// 00000000B884: 0B1B1AFA FF015512
	v_mul_f32_dpp v142, v18, v142 row_newbcast:6 row_mask:0xf bank_mask:0xf// 00000000B88C: 0B1D1CFA FF015612
	v_mul_f32_dpp v143, v18, v143 row_newbcast:7 row_mask:0xf bank_mask:0xf// 00000000B894: 0B1F1EFA FF015712
	v_mul_f32_dpp v144, v18, v144 row_newbcast:8 row_mask:0xf bank_mask:0xf// 00000000B89C: 0B2120FA FF015812
	v_mul_f32_dpp v145, v18, v145 row_newbcast:9 row_mask:0xf bank_mask:0xf// 00000000B8A4: 0B2322FA FF015912
	v_mul_f32_dpp v146, v18, v146 row_newbcast:10 row_mask:0xf bank_mask:0xf// 00000000B8AC: 0B2524FA FF015A12
	v_mul_f32_dpp v147, v18, v147 row_newbcast:11 row_mask:0xf bank_mask:0xf// 00000000B8B4: 0B2726FA FF015B12
	v_mul_f32_dpp v148, v18, v148 row_newbcast:8 row_mask:0xf bank_mask:0xf// 00000000B8BC: 0B2928FA FF015812
	v_mul_f32_dpp v149, v18, v149 row_newbcast:9 row_mask:0xf bank_mask:0xf// 00000000B8C4: 0B2B2AFA FF015912
	v_mul_f32_dpp v150, v18, v150 row_newbcast:10 row_mask:0xf bank_mask:0xf// 00000000B8CC: 0B2D2CFA FF015A12
	v_mul_f32_dpp v151, v18, v151 row_newbcast:11 row_mask:0xf bank_mask:0xf// 00000000B8D4: 0B2F2EFA FF015B12
	v_mul_f32_dpp v152, v18, v152 row_newbcast:12 row_mask:0xf bank_mask:0xf// 00000000B8DC: 0B3130FA FF015C12
	v_mul_f32_dpp v153, v18, v153 row_newbcast:13 row_mask:0xf bank_mask:0xf// 00000000B8E4: 0B3332FA FF015D12
	v_mul_f32_dpp v154, v18, v154 row_newbcast:14 row_mask:0xf bank_mask:0xf// 00000000B8EC: 0B3534FA FF015E12
	v_mul_f32_dpp v155, v18, v155 row_newbcast:15 row_mask:0xf bank_mask:0xf// 00000000B8F4: 0B3736FA FF015F12
	v_mul_f32_dpp v156, v18, v156 row_newbcast:12 row_mask:0xf bank_mask:0xf// 00000000B8FC: 0B3938FA FF015C12
	v_mul_f32_dpp v157, v18, v157 row_newbcast:13 row_mask:0xf bank_mask:0xf// 00000000B904: 0B3B3AFA FF015D12
	v_mul_f32_dpp v158, v18, v158 row_newbcast:14 row_mask:0xf bank_mask:0xf// 00000000B90C: 0B3D3CFA FF015E12
	v_mul_f32_dpp v159, v18, v159 row_newbcast:15 row_mask:0xf bank_mask:0xf// 00000000B914: 0B3F3EFA FF015F12
	v_mul_f32_dpp v160, v19, v160 row_newbcast:0 row_mask:0xf bank_mask:0xf// 00000000B91C: 0B4140FA FF015013
	v_mul_f32_dpp v161, v19, v161 row_newbcast:1 row_mask:0xf bank_mask:0xf// 00000000B924: 0B4342FA FF015113
	v_mul_f32_dpp v162, v19, v162 row_newbcast:2 row_mask:0xf bank_mask:0xf// 00000000B92C: 0B4544FA FF015213
	v_mul_f32_dpp v163, v19, v163 row_newbcast:3 row_mask:0xf bank_mask:0xf// 00000000B934: 0B4746FA FF015313
	v_mul_f32_dpp v164, v19, v164 row_newbcast:0 row_mask:0xf bank_mask:0xf// 00000000B93C: 0B4948FA FF015013
	v_mul_f32_dpp v165, v19, v165 row_newbcast:1 row_mask:0xf bank_mask:0xf// 00000000B944: 0B4B4AFA FF015113
	v_mul_f32_dpp v166, v19, v166 row_newbcast:2 row_mask:0xf bank_mask:0xf// 00000000B94C: 0B4D4CFA FF015213
	v_mul_f32_dpp v167, v19, v167 row_newbcast:3 row_mask:0xf bank_mask:0xf// 00000000B954: 0B4F4EFA FF015313
	v_mul_f32_dpp v168, v19, v168 row_newbcast:4 row_mask:0xf bank_mask:0xf// 00000000B95C: 0B5150FA FF015413
	v_mul_f32_dpp v169, v19, v169 row_newbcast:5 row_mask:0xf bank_mask:0xf// 00000000B964: 0B5352FA FF015513
	v_mul_f32_dpp v170, v19, v170 row_newbcast:6 row_mask:0xf bank_mask:0xf// 00000000B96C: 0B5554FA FF015613
	v_mul_f32_dpp v171, v19, v171 row_newbcast:7 row_mask:0xf bank_mask:0xf// 00000000B974: 0B5756FA FF015713
	v_mul_f32_dpp v172, v19, v172 row_newbcast:4 row_mask:0xf bank_mask:0xf// 00000000B97C: 0B5958FA FF015413
	v_mul_f32_dpp v173, v19, v173 row_newbcast:5 row_mask:0xf bank_mask:0xf// 00000000B984: 0B5B5AFA FF015513
	v_mul_f32_dpp v174, v19, v174 row_newbcast:6 row_mask:0xf bank_mask:0xf// 00000000B98C: 0B5D5CFA FF015613
	v_mul_f32_dpp v175, v19, v175 row_newbcast:7 row_mask:0xf bank_mask:0xf// 00000000B994: 0B5F5EFA FF015713
	v_mul_f32_dpp v176, v19, v176 row_newbcast:8 row_mask:0xf bank_mask:0xf// 00000000B99C: 0B6160FA FF015813
	v_mul_f32_dpp v177, v19, v177 row_newbcast:9 row_mask:0xf bank_mask:0xf// 00000000B9A4: 0B6362FA FF015913
	v_mul_f32_dpp v178, v19, v178 row_newbcast:10 row_mask:0xf bank_mask:0xf// 00000000B9AC: 0B6564FA FF015A13
	v_mul_f32_dpp v179, v19, v179 row_newbcast:11 row_mask:0xf bank_mask:0xf// 00000000B9B4: 0B6766FA FF015B13
	v_mul_f32_dpp v180, v19, v180 row_newbcast:8 row_mask:0xf bank_mask:0xf// 00000000B9BC: 0B6968FA FF015813
	v_mul_f32_dpp v181, v19, v181 row_newbcast:9 row_mask:0xf bank_mask:0xf// 00000000B9C4: 0B6B6AFA FF015913
	v_mul_f32_dpp v182, v19, v182 row_newbcast:10 row_mask:0xf bank_mask:0xf// 00000000B9CC: 0B6D6CFA FF015A13
	v_mul_f32_dpp v183, v19, v183 row_newbcast:11 row_mask:0xf bank_mask:0xf// 00000000B9D4: 0B6F6EFA FF015B13
	v_mul_f32_dpp v184, v19, v184 row_newbcast:12 row_mask:0xf bank_mask:0xf// 00000000B9DC: 0B7170FA FF015C13
	v_mul_f32_dpp v185, v19, v185 row_newbcast:13 row_mask:0xf bank_mask:0xf// 00000000B9E4: 0B7372FA FF015D13
	v_mul_f32_dpp v186, v19, v186 row_newbcast:14 row_mask:0xf bank_mask:0xf// 00000000B9EC: 0B7574FA FF015E13
	v_mul_f32_dpp v187, v19, v187 row_newbcast:15 row_mask:0xf bank_mask:0xf// 00000000B9F4: 0B7776FA FF015F13
	v_mul_f32_dpp v188, v19, v188 row_newbcast:12 row_mask:0xf bank_mask:0xf// 00000000B9FC: 0B7978FA FF015C13
	v_mul_f32_dpp v189, v19, v189 row_newbcast:13 row_mask:0xf bank_mask:0xf// 00000000BA04: 0B7B7AFA FF015D13
	v_mul_f32_dpp v190, v19, v190 row_newbcast:14 row_mask:0xf bank_mask:0xf// 00000000BA0C: 0B7D7CFA FF015E13
	v_mul_f32_dpp v191, v19, v191 row_newbcast:15 row_mask:0xf bank_mask:0xf// 00000000BA14: 0B7F7EFA FF015F13
	v_lshlrev_b32_e32 v52, 2, v0                               // 00000000BA1C: 24680082
	s_mul_i32 s60, s82, s71                                    // 00000000BA20: 923C4752
	v_add_u32_e64 v80, v52, s60                                // 00000000BA24: D1340050 00007934
	v_mov_b32_e32 v81, 0                                       // 00000000BA2C: 7EA20280
	s_mul_i32 s60, s83, s71                                    // 00000000BA30: 923C4753
	v_add_u32_e64 v82, v52, s60                                // 00000000BA34: D1340052 00007934
	v_mov_b32_e32 v83, 0                                       // 00000000BA3C: 7EA60280
	s_mul_i32 s60, s84, s71                                    // 00000000BA40: 923C4754
	v_add_u32_e64 v84, v52, s60                                // 00000000BA44: D1340054 00007934
	v_mov_b32_e32 v85, 0                                       // 00000000BA4C: 7EAA0280
	s_mul_i32 s60, s85, s71                                    // 00000000BA50: 923C4755
	v_add_u32_e64 v86, v52, s60                                // 00000000BA54: D1340056 00007934
	v_mov_b32_e32 v87, 0                                       // 00000000BA5C: 7EAE0280
	s_mul_i32 s60, s86, s71                                    // 00000000BA60: 923C4756
	v_add_u32_e64 v88, v52, s60                                // 00000000BA64: D1340058 00007934
	v_mov_b32_e32 v89, 0                                       // 00000000BA6C: 7EB20280
	s_mul_i32 s60, s87, s71                                    // 00000000BA70: 923C4757
	v_add_u32_e64 v90, v52, s60                                // 00000000BA74: D134005A 00007934
	v_mov_b32_e32 v91, 0                                       // 00000000BA7C: 7EB60280
	s_mul_i32 s60, s88, s71                                    // 00000000BA80: 923C4758
	v_add_u32_e64 v92, v52, s60                                // 00000000BA84: D134005C 00007934
	v_mov_b32_e32 v93, 0                                       // 00000000BA8C: 7EBA0280
	s_mul_i32 s60, s89, s71                                    // 00000000BA90: 923C4759
	v_add_u32_e64 v94, v52, s60                                // 00000000BA94: D134005E 00007934
	v_mov_b32_e32 v95, 0                                       // 00000000BA9C: 7EBE0280
	buffer_load_dword v12, v5, s[16:19], 0 offen               // 00000000BAA0: E0501000 80040C05
	v_mov_b32_e32 v22, 0x358637bd                              // 00000000BAA8: 7E2C02FF 358637BD
	v_mov_b32_e32 v23, 0x358637bd                              // 00000000BAB0: 7E2E02FF 358637BD
	v_max3_f32 v22, |v128|, |v129|, v22                        // 00000000BAB8: D1D30316 045B0380
	v_max3_f32 v22, |v130|, |v131|, v22                        // 00000000BAC0: D1D30316 045B0782
	v_max3_f32 v23, |v132|, |v133|, v23                        // 00000000BAC8: D1D30317 045F0B84
	v_max3_f32 v23, |v134|, |v135|, v23                        // 00000000BAD0: D1D30317 045F0F86
	v_max3_f32 v22, |v136|, |v137|, v22                        // 00000000BAD8: D1D30316 045B1388
	v_max3_f32 v22, |v138|, |v139|, v22                        // 00000000BAE0: D1D30316 045B178A
	v_max3_f32 v23, |v140|, |v141|, v23                        // 00000000BAE8: D1D30317 045F1B8C
	v_max3_f32 v23, |v142|, |v143|, v23                        // 00000000BAF0: D1D30317 045F1F8E
	v_max3_f32 v22, |v144|, |v145|, v22                        // 00000000BAF8: D1D30316 045B2390
	v_max3_f32 v22, |v146|, |v147|, v22                        // 00000000BB00: D1D30316 045B2792
	v_max3_f32 v23, |v148|, |v149|, v23                        // 00000000BB08: D1D30317 045F2B94
	v_max3_f32 v23, |v150|, |v151|, v23                        // 00000000BB10: D1D30317 045F2F96
	v_max3_f32 v22, |v152|, |v153|, v22                        // 00000000BB18: D1D30316 045B3398
	v_max3_f32 v22, |v154|, |v155|, v22                        // 00000000BB20: D1D30316 045B379A
	v_max3_f32 v23, |v156|, |v157|, v23                        // 00000000BB28: D1D30317 045F3B9C
	v_max3_f32 v23, |v158|, |v159|, v23                        // 00000000BB30: D1D30317 045F3F9E
	v_max3_f32 v22, |v160|, |v161|, v22                        // 00000000BB38: D1D30316 045B43A0
	v_max3_f32 v22, |v162|, |v163|, v22                        // 00000000BB40: D1D30316 045B47A2
	v_max3_f32 v23, |v164|, |v165|, v23                        // 00000000BB48: D1D30317 045F4BA4
	v_max3_f32 v23, |v166|, |v167|, v23                        // 00000000BB50: D1D30317 045F4FA6
	v_max3_f32 v22, |v168|, |v169|, v22                        // 00000000BB58: D1D30316 045B53A8
	v_max3_f32 v22, |v170|, |v171|, v22                        // 00000000BB60: D1D30316 045B57AA
	v_max3_f32 v23, |v172|, |v173|, v23                        // 00000000BB68: D1D30317 045F5BAC
	v_max3_f32 v23, |v174|, |v175|, v23                        // 00000000BB70: D1D30317 045F5FAE
	v_max3_f32 v22, |v176|, |v177|, v22                        // 00000000BB78: D1D30316 045B63B0
	v_max3_f32 v22, |v178|, |v179|, v22                        // 00000000BB80: D1D30316 045B67B2
	v_max3_f32 v23, |v180|, |v181|, v23                        // 00000000BB88: D1D30317 045F6BB4
	v_max3_f32 v23, |v182|, |v183|, v23                        // 00000000BB90: D1D30317 045F6FB6
	v_max3_f32 v22, |v184|, |v185|, v22                        // 00000000BB98: D1D30316 045B73B8
	v_max3_f32 v22, |v186|, |v187|, v22                        // 00000000BBA0: D1D30316 045B77BA
	v_max3_f32 v23, |v188|, |v189|, v23                        // 00000000BBA8: D1D30317 045F7BBC
	v_max3_f32 v23, |v190|, |v191|, v23                        // 00000000BBB0: D1D30317 045F7FBE
	v_lshlrev_b32_e32 v52, 3, v0                               // 00000000BBB8: 24680083
	s_mul_i32 s60, 0x200, s7                                   // 00000000BBBC: 923C07FF 00000200
	v_add_u32_e32 v52, s60, v52                                // 00000000BBC4: 6868683C
	ds_write_b64 v52, v[22:23] offset:16640                    // 00000000BBC8: D89A4100 00001634
	s_waitcnt lgkmcnt(0)                                       // 00000000BBD0: BF8CC07F
	s_barrier                                                  // 00000000BBD4: BF8A0000
	v_and_b32_e32 v52, 15, v0                                  // 00000000BBD8: 2668008F
	v_lshlrev_b32_e32 v52, 3, v52                              // 00000000BBDC: 24686883
	ds_read_b64 v[96:97], v52 offset:16640                     // 00000000BBE0: D8EC4100 60000034
	ds_read_b64 v[98:99], v52 offset:16768                     // 00000000BBE8: D8EC4180 62000034
	ds_read_b64 v[100:101], v52 offset:16896                   // 00000000BBF0: D8EC4200 64000034
	ds_read_b64 v[102:103], v52 offset:17024                   // 00000000BBF8: D8EC4280 66000034
	ds_read_b64 v[104:105], v52 offset:17152                   // 00000000BC00: D8EC4300 68000034
	ds_read_b64 v[106:107], v52 offset:17280                   // 00000000BC08: D8EC4380 6A000034
	ds_read_b64 v[108:109], v52 offset:17408                   // 00000000BC10: D8EC4400 6C000034
	ds_read_b64 v[110:111], v52 offset:17536                   // 00000000BC18: D8EC4480 6E000034
	ds_read_b64 v[112:113], v52 offset:17664                   // 00000000BC20: D8EC4500 70000034
	ds_read_b64 v[114:115], v52 offset:17792                   // 00000000BC28: D8EC4580 72000034
	ds_read_b64 v[116:117], v52 offset:17920                   // 00000000BC30: D8EC4600 74000034
	ds_read_b64 v[118:119], v52 offset:18048                   // 00000000BC38: D8EC4680 76000034
	ds_read_b64 v[120:121], v52 offset:18176                   // 00000000BC40: D8EC4700 78000034
	ds_read_b64 v[122:123], v52 offset:18304                   // 00000000BC48: D8EC4780 7A000034
	ds_read_b64 v[124:125], v52 offset:18432                   // 00000000BC50: D8EC4800 7C000034
	ds_read_b64 v[126:127], v52 offset:18560                   // 00000000BC58: D8EC4880 7E000034
	s_waitcnt lgkmcnt(0)                                       // 00000000BC60: BF8CC07F
	v_max3_f32 v22, |v96|, |v98|, v22                          // 00000000BC64: D1D30316 045AC560
	v_max3_f32 v23, |v97|, |v99|, v23                          // 00000000BC6C: D1D30317 045EC761
	v_max3_f32 v22, |v100|, |v102|, v22                        // 00000000BC74: D1D30316 045ACD64
	v_max3_f32 v23, |v101|, |v103|, v23                        // 00000000BC7C: D1D30317 045ECF65
	v_max3_f32 v22, |v104|, |v106|, v22                        // 00000000BC84: D1D30316 045AD568
	v_max3_f32 v23, |v105|, |v107|, v23                        // 00000000BC8C: D1D30317 045ED769
	v_max3_f32 v22, |v108|, |v110|, v22                        // 00000000BC94: D1D30316 045ADD6C
	v_max3_f32 v23, |v109|, |v111|, v23                        // 00000000BC9C: D1D30317 045EDF6D
	v_max3_f32 v22, |v112|, |v114|, v22                        // 00000000BCA4: D1D30316 045AE570
	v_max3_f32 v23, |v113|, |v115|, v23                        // 00000000BCAC: D1D30317 045EE771
	v_max3_f32 v22, |v116|, |v118|, v22                        // 00000000BCB4: D1D30316 045AED74
	v_max3_f32 v23, |v117|, |v119|, v23                        // 00000000BCBC: D1D30317 045EEF75
	v_max3_f32 v22, |v120|, |v122|, v22                        // 00000000BCC4: D1D30316 045AF578
	v_max3_f32 v23, |v121|, |v123|, v23                        // 00000000BCCC: D1D30317 045EF779
	v_max3_f32 v22, |v124|, |v126|, v22                        // 00000000BCD4: D1D30316 045AFD7C
	v_max3_f32 v23, |v125|, |v127|, v23                        // 00000000BCDC: D1D30317 045EFF7D
	v_rcp_f32_e32 v22, v22                                     // 00000000BCE4: 7E2C4516
	v_rcp_f32_e32 v23, v23                                     // 00000000BCE8: 7E2E4517
	v_mul_f32_e32 v22, 0x42fe0000, v22                         // 00000000BCEC: 0A2C2CFF 42FE0000
	v_mul_f32_e32 v23, 0x42fe0000, v23                         // 00000000BCF4: 0A2E2EFF 42FE0000
	v_mul_f32_e32 v128, v22, v128                              // 00000000BCFC: 0B010116
	v_mul_f32_e32 v129, v22, v129                              // 00000000BD00: 0B030316
	v_mul_f32_e32 v130, v22, v130                              // 00000000BD04: 0B050516
	v_mul_f32_e32 v131, v22, v131                              // 00000000BD08: 0B070716
	v_cvt_i32_f32_e32 v128, v128                               // 00000000BD0C: 7F001180
	v_cvt_i32_f32_e32 v129, v129                               // 00000000BD10: 7F021181
	v_cvt_i32_f32_e32 v130, v130                               // 00000000BD14: 7F041182
	v_cvt_i32_f32_e32 v131, v131                               // 00000000BD18: 7F061183
	v_perm_b32 v128, v129, v128, s53                           // 00000000BD1C: D1ED0080 00D70181
	v_perm_b32 v128, v130, v128, s54                           // 00000000BD24: D1ED0080 00DB0182
	v_perm_b32 v128, v131, v128, s55                           // 00000000BD2C: D1ED0080 00DF0183
	v_mul_f32_e32 v132, v23, v132                              // 00000000BD34: 0B090917
	v_mul_f32_e32 v133, v23, v133                              // 00000000BD38: 0B0B0B17
	v_mul_f32_e32 v134, v23, v134                              // 00000000BD3C: 0B0D0D17
	v_mul_f32_e32 v135, v23, v135                              // 00000000BD40: 0B0F0F17
	v_cvt_i32_f32_e32 v132, v132                               // 00000000BD44: 7F081184
	v_cvt_i32_f32_e32 v133, v133                               // 00000000BD48: 7F0A1185
	v_cvt_i32_f32_e32 v134, v134                               // 00000000BD4C: 7F0C1186
	v_cvt_i32_f32_e32 v135, v135                               // 00000000BD50: 7F0E1187
	v_perm_b32 v129, v133, v132, s53                           // 00000000BD54: D1ED0081 00D70985
	v_perm_b32 v129, v134, v129, s54                           // 00000000BD5C: D1ED0081 00DB0386
	v_perm_b32 v129, v135, v129, s55                           // 00000000BD64: D1ED0081 00DF0387
	v_mul_f32_e32 v136, v22, v136                              // 00000000BD6C: 0B111116
	v_mul_f32_e32 v137, v22, v137                              // 00000000BD70: 0B131316
	v_mul_f32_e32 v138, v22, v138                              // 00000000BD74: 0B151516
	v_mul_f32_e32 v139, v22, v139                              // 00000000BD78: 0B171716
	v_cvt_i32_f32_e32 v136, v136                               // 00000000BD7C: 7F101188
	v_cvt_i32_f32_e32 v137, v137                               // 00000000BD80: 7F121189
	v_cvt_i32_f32_e32 v138, v138                               // 00000000BD84: 7F14118A
	v_cvt_i32_f32_e32 v139, v139                               // 00000000BD88: 7F16118B
	v_perm_b32 v130, v137, v136, s53                           // 00000000BD8C: D1ED0082 00D71189
	v_perm_b32 v130, v138, v130, s54                           // 00000000BD94: D1ED0082 00DB058A
	v_perm_b32 v130, v139, v130, s55                           // 00000000BD9C: D1ED0082 00DF058B
	v_mul_f32_e32 v140, v23, v140                              // 00000000BDA4: 0B191917
	v_mul_f32_e32 v141, v23, v141                              // 00000000BDA8: 0B1B1B17
	v_mul_f32_e32 v142, v23, v142                              // 00000000BDAC: 0B1D1D17
	v_mul_f32_e32 v143, v23, v143                              // 00000000BDB0: 0B1F1F17
	v_cvt_i32_f32_e32 v140, v140                               // 00000000BDB4: 7F18118C
	v_cvt_i32_f32_e32 v141, v141                               // 00000000BDB8: 7F1A118D
	v_cvt_i32_f32_e32 v142, v142                               // 00000000BDBC: 7F1C118E
	v_cvt_i32_f32_e32 v143, v143                               // 00000000BDC0: 7F1E118F
	v_perm_b32 v131, v141, v140, s53                           // 00000000BDC4: D1ED0083 00D7198D
	v_perm_b32 v131, v142, v131, s54                           // 00000000BDCC: D1ED0083 00DB078E
	v_perm_b32 v131, v143, v131, s55                           // 00000000BDD4: D1ED0083 00DF078F
	v_mul_f32_e32 v144, v22, v144                              // 00000000BDDC: 0B212116
	v_mul_f32_e32 v145, v22, v145                              // 00000000BDE0: 0B232316
	v_mul_f32_e32 v146, v22, v146                              // 00000000BDE4: 0B252516
	v_mul_f32_e32 v147, v22, v147                              // 00000000BDE8: 0B272716
	v_cvt_i32_f32_e32 v144, v144                               // 00000000BDEC: 7F201190
	v_cvt_i32_f32_e32 v145, v145                               // 00000000BDF0: 7F221191
	v_cvt_i32_f32_e32 v146, v146                               // 00000000BDF4: 7F241192
	v_cvt_i32_f32_e32 v147, v147                               // 00000000BDF8: 7F261193
	v_perm_b32 v132, v145, v144, s53                           // 00000000BDFC: D1ED0084 00D72191
	v_perm_b32 v132, v146, v132, s54                           // 00000000BE04: D1ED0084 00DB0992
	v_perm_b32 v132, v147, v132, s55                           // 00000000BE0C: D1ED0084 00DF0993
	v_mul_f32_e32 v148, v23, v148                              // 00000000BE14: 0B292917
	v_mul_f32_e32 v149, v23, v149                              // 00000000BE18: 0B2B2B17
	v_mul_f32_e32 v150, v23, v150                              // 00000000BE1C: 0B2D2D17
	v_mul_f32_e32 v151, v23, v151                              // 00000000BE20: 0B2F2F17
	v_cvt_i32_f32_e32 v148, v148                               // 00000000BE24: 7F281194
	v_cvt_i32_f32_e32 v149, v149                               // 00000000BE28: 7F2A1195
	v_cvt_i32_f32_e32 v150, v150                               // 00000000BE2C: 7F2C1196
	v_cvt_i32_f32_e32 v151, v151                               // 00000000BE30: 7F2E1197
	v_perm_b32 v133, v149, v148, s53                           // 00000000BE34: D1ED0085 00D72995
	v_perm_b32 v133, v150, v133, s54                           // 00000000BE3C: D1ED0085 00DB0B96
	v_perm_b32 v133, v151, v133, s55                           // 00000000BE44: D1ED0085 00DF0B97
	v_mul_f32_e32 v152, v22, v152                              // 00000000BE4C: 0B313116
	v_mul_f32_e32 v153, v22, v153                              // 00000000BE50: 0B333316
	v_mul_f32_e32 v154, v22, v154                              // 00000000BE54: 0B353516
	v_mul_f32_e32 v155, v22, v155                              // 00000000BE58: 0B373716
	v_cvt_i32_f32_e32 v152, v152                               // 00000000BE5C: 7F301198
	v_cvt_i32_f32_e32 v153, v153                               // 00000000BE60: 7F321199
	v_cvt_i32_f32_e32 v154, v154                               // 00000000BE64: 7F34119A
	v_cvt_i32_f32_e32 v155, v155                               // 00000000BE68: 7F36119B
	v_perm_b32 v134, v153, v152, s53                           // 00000000BE6C: D1ED0086 00D73199
	v_perm_b32 v134, v154, v134, s54                           // 00000000BE74: D1ED0086 00DB0D9A
	v_perm_b32 v134, v155, v134, s55                           // 00000000BE7C: D1ED0086 00DF0D9B
	v_mul_f32_e32 v156, v23, v156                              // 00000000BE84: 0B393917
	v_mul_f32_e32 v157, v23, v157                              // 00000000BE88: 0B3B3B17
	v_mul_f32_e32 v158, v23, v158                              // 00000000BE8C: 0B3D3D17
	v_mul_f32_e32 v159, v23, v159                              // 00000000BE90: 0B3F3F17
	v_cvt_i32_f32_e32 v156, v156                               // 00000000BE94: 7F38119C
	v_cvt_i32_f32_e32 v157, v157                               // 00000000BE98: 7F3A119D
	v_cvt_i32_f32_e32 v158, v158                               // 00000000BE9C: 7F3C119E
	v_cvt_i32_f32_e32 v159, v159                               // 00000000BEA0: 7F3E119F
	v_perm_b32 v135, v157, v156, s53                           // 00000000BEA4: D1ED0087 00D7399D
	v_perm_b32 v135, v158, v135, s54                           // 00000000BEAC: D1ED0087 00DB0F9E
	v_perm_b32 v135, v159, v135, s55                           // 00000000BEB4: D1ED0087 00DF0F9F
	v_mul_f32_e32 v160, v22, v160                              // 00000000BEBC: 0B414116
	v_mul_f32_e32 v161, v22, v161                              // 00000000BEC0: 0B434316
	v_mul_f32_e32 v162, v22, v162                              // 00000000BEC4: 0B454516
	v_mul_f32_e32 v163, v22, v163                              // 00000000BEC8: 0B474716
	v_cvt_i32_f32_e32 v160, v160                               // 00000000BECC: 7F4011A0
	v_cvt_i32_f32_e32 v161, v161                               // 00000000BED0: 7F4211A1
	v_cvt_i32_f32_e32 v162, v162                               // 00000000BED4: 7F4411A2
	v_cvt_i32_f32_e32 v163, v163                               // 00000000BED8: 7F4611A3
	v_perm_b32 v136, v161, v160, s53                           // 00000000BEDC: D1ED0088 00D741A1
	v_perm_b32 v136, v162, v136, s54                           // 00000000BEE4: D1ED0088 00DB11A2
	v_perm_b32 v136, v163, v136, s55                           // 00000000BEEC: D1ED0088 00DF11A3
	v_mul_f32_e32 v164, v23, v164                              // 00000000BEF4: 0B494917
	v_mul_f32_e32 v165, v23, v165                              // 00000000BEF8: 0B4B4B17
	v_mul_f32_e32 v166, v23, v166                              // 00000000BEFC: 0B4D4D17
	v_mul_f32_e32 v167, v23, v167                              // 00000000BF00: 0B4F4F17
	v_cvt_i32_f32_e32 v164, v164                               // 00000000BF04: 7F4811A4
	v_cvt_i32_f32_e32 v165, v165                               // 00000000BF08: 7F4A11A5
	v_cvt_i32_f32_e32 v166, v166                               // 00000000BF0C: 7F4C11A6
	v_cvt_i32_f32_e32 v167, v167                               // 00000000BF10: 7F4E11A7
	v_perm_b32 v137, v165, v164, s53                           // 00000000BF14: D1ED0089 00D749A5
	v_perm_b32 v137, v166, v137, s54                           // 00000000BF1C: D1ED0089 00DB13A6
	v_perm_b32 v137, v167, v137, s55                           // 00000000BF24: D1ED0089 00DF13A7
	v_mul_f32_e32 v168, v22, v168                              // 00000000BF2C: 0B515116
	v_mul_f32_e32 v169, v22, v169                              // 00000000BF30: 0B535316
	v_mul_f32_e32 v170, v22, v170                              // 00000000BF34: 0B555516
	v_mul_f32_e32 v171, v22, v171                              // 00000000BF38: 0B575716
	v_cvt_i32_f32_e32 v168, v168                               // 00000000BF3C: 7F5011A8
	v_cvt_i32_f32_e32 v169, v169                               // 00000000BF40: 7F5211A9
	v_cvt_i32_f32_e32 v170, v170                               // 00000000BF44: 7F5411AA
	v_cvt_i32_f32_e32 v171, v171                               // 00000000BF48: 7F5611AB
	v_perm_b32 v138, v169, v168, s53                           // 00000000BF4C: D1ED008A 00D751A9
	v_perm_b32 v138, v170, v138, s54                           // 00000000BF54: D1ED008A 00DB15AA
	v_perm_b32 v138, v171, v138, s55                           // 00000000BF5C: D1ED008A 00DF15AB
	v_mul_f32_e32 v172, v23, v172                              // 00000000BF64: 0B595917
	v_mul_f32_e32 v173, v23, v173                              // 00000000BF68: 0B5B5B17
	v_mul_f32_e32 v174, v23, v174                              // 00000000BF6C: 0B5D5D17
	v_mul_f32_e32 v175, v23, v175                              // 00000000BF70: 0B5F5F17
	v_cvt_i32_f32_e32 v172, v172                               // 00000000BF74: 7F5811AC
	v_cvt_i32_f32_e32 v173, v173                               // 00000000BF78: 7F5A11AD
	v_cvt_i32_f32_e32 v174, v174                               // 00000000BF7C: 7F5C11AE
	v_cvt_i32_f32_e32 v175, v175                               // 00000000BF80: 7F5E11AF
	v_perm_b32 v139, v173, v172, s53                           // 00000000BF84: D1ED008B 00D759AD
	v_perm_b32 v139, v174, v139, s54                           // 00000000BF8C: D1ED008B 00DB17AE
	v_perm_b32 v139, v175, v139, s55                           // 00000000BF94: D1ED008B 00DF17AF
	v_mul_f32_e32 v176, v22, v176                              // 00000000BF9C: 0B616116
	v_mul_f32_e32 v177, v22, v177                              // 00000000BFA0: 0B636316
	v_mul_f32_e32 v178, v22, v178                              // 00000000BFA4: 0B656516
	v_mul_f32_e32 v179, v22, v179                              // 00000000BFA8: 0B676716
	v_cvt_i32_f32_e32 v176, v176                               // 00000000BFAC: 7F6011B0
	v_cvt_i32_f32_e32 v177, v177                               // 00000000BFB0: 7F6211B1
	v_cvt_i32_f32_e32 v178, v178                               // 00000000BFB4: 7F6411B2
	v_cvt_i32_f32_e32 v179, v179                               // 00000000BFB8: 7F6611B3
	v_perm_b32 v140, v177, v176, s53                           // 00000000BFBC: D1ED008C 00D761B1
	v_perm_b32 v140, v178, v140, s54                           // 00000000BFC4: D1ED008C 00DB19B2
	v_perm_b32 v140, v179, v140, s55                           // 00000000BFCC: D1ED008C 00DF19B3
	v_mul_f32_e32 v180, v23, v180                              // 00000000BFD4: 0B696917
	v_mul_f32_e32 v181, v23, v181                              // 00000000BFD8: 0B6B6B17
	v_mul_f32_e32 v182, v23, v182                              // 00000000BFDC: 0B6D6D17
	v_mul_f32_e32 v183, v23, v183                              // 00000000BFE0: 0B6F6F17
	v_cvt_i32_f32_e32 v180, v180                               // 00000000BFE4: 7F6811B4
	v_cvt_i32_f32_e32 v181, v181                               // 00000000BFE8: 7F6A11B5
	v_cvt_i32_f32_e32 v182, v182                               // 00000000BFEC: 7F6C11B6
	v_cvt_i32_f32_e32 v183, v183                               // 00000000BFF0: 7F6E11B7
	v_perm_b32 v141, v181, v180, s53                           // 00000000BFF4: D1ED008D 00D769B5
	v_perm_b32 v141, v182, v141, s54                           // 00000000BFFC: D1ED008D 00DB1BB6
	v_perm_b32 v141, v183, v141, s55                           // 00000000C004: D1ED008D 00DF1BB7
	v_mul_f32_e32 v184, v22, v184                              // 00000000C00C: 0B717116
	v_mul_f32_e32 v185, v22, v185                              // 00000000C010: 0B737316
	v_mul_f32_e32 v186, v22, v186                              // 00000000C014: 0B757516
	v_mul_f32_e32 v187, v22, v187                              // 00000000C018: 0B777716
	v_cvt_i32_f32_e32 v184, v184                               // 00000000C01C: 7F7011B8
	v_cvt_i32_f32_e32 v185, v185                               // 00000000C020: 7F7211B9
	v_cvt_i32_f32_e32 v186, v186                               // 00000000C024: 7F7411BA
	v_cvt_i32_f32_e32 v187, v187                               // 00000000C028: 7F7611BB
	v_perm_b32 v142, v185, v184, s53                           // 00000000C02C: D1ED008E 00D771B9
	v_perm_b32 v142, v186, v142, s54                           // 00000000C034: D1ED008E 00DB1DBA
	v_perm_b32 v142, v187, v142, s55                           // 00000000C03C: D1ED008E 00DF1DBB
	v_mul_f32_e32 v188, v23, v188                              // 00000000C044: 0B797917
	v_mul_f32_e32 v189, v23, v189                              // 00000000C048: 0B7B7B17
	v_mul_f32_e32 v190, v23, v190                              // 00000000C04C: 0B7D7D17
	v_mul_f32_e32 v191, v23, v191                              // 00000000C050: 0B7F7F17
	v_cvt_i32_f32_e32 v188, v188                               // 00000000C054: 7F7811BC
	v_cvt_i32_f32_e32 v189, v189                               // 00000000C058: 7F7A11BD
	v_cvt_i32_f32_e32 v190, v190                               // 00000000C05C: 7F7C11BE
	v_cvt_i32_f32_e32 v191, v191                               // 00000000C060: 7F7E11BF
	v_perm_b32 v143, v189, v188, s53                           // 00000000C064: D1ED008F 00D779BD
	v_perm_b32 v143, v190, v143, s54                           // 00000000C06C: D1ED008F 00DB1FBE
	v_perm_b32 v143, v191, v143, s55                           // 00000000C074: D1ED008F 00DF1FBF
	v_rcp_f32_e32 v24, v22                                     // 00000000C07C: 7E304516
	v_rcp_f32_e32 v25, v23                                     // 00000000C080: 7E324517
	v_lshrrev_b32_e32 v52, 5, v0                               // 00000000C084: 20680085
	v_lshlrev_b32_e32 v53, 5, v52                              // 00000000C088: 246A6885
	v_and_b32_e32 v52, 31, v0                                  // 00000000C08C: 2668009F
	v_lshrrev_b32_e32 v54, 4, v52                              // 00000000C090: 206C6884
	v_add_u32_e32 v53, v54, v53                                // 00000000C094: 686A6B36
	v_and_b32_e32 v52, 15, v0                                  // 00000000C098: 2668008F
	v_lshlrev_b32_e32 v52, 1, v52                              // 00000000C09C: 24686881
	v_add_u32_e32 v53, v52, v53                                // 00000000C0A0: 686A6B34
	v_lshlrev_b32_e32 v52, 2, v53                              // 00000000C0A4: 24686A82
	s_mul_i32 s60, 0x100, s7                                   // 00000000C0A8: 923C07FF 00000100
	v_add_u32_e64 v52, v52, s60                                // 00000000C0B0: D1340034 00007934
	ds_write_b32 v52, v128 offset:18688                        // 00000000C0B8: D81A4900 00008034
	ds_write_b32 v52, v129 offset:26880                        // 00000000C0C0: D81A6900 00008134
	ds_write_b32 v52, v130 offset:19712                        // 00000000C0C8: D81A4D00 00008234
	ds_write_b32 v52, v131 offset:27904                        // 00000000C0D0: D81A6D00 00008334
	ds_write_b32 v52, v132 offset:20736                        // 00000000C0D8: D81A5100 00008434
	ds_write_b32 v52, v133 offset:28928                        // 00000000C0E0: D81A7100 00008534
	ds_write_b32 v52, v134 offset:21760                        // 00000000C0E8: D81A5500 00008634
	ds_write_b32 v52, v135 offset:29952                        // 00000000C0F0: D81A7500 00008734
	ds_write_b32 v52, v136 offset:22784                        // 00000000C0F8: D81A5900 00008834
	ds_write_b32 v52, v137 offset:30976                        // 00000000C100: D81A7900 00008934
	ds_write_b32 v52, v138 offset:23808                        // 00000000C108: D81A5D00 00008A34
	ds_write_b32 v52, v139 offset:32000                        // 00000000C110: D81A7D00 00008B34
	ds_write_b32 v52, v140 offset:24832                        // 00000000C118: D81A6100 00008C34
	ds_write_b32 v52, v141 offset:33024                        // 00000000C120: D81A8100 00008D34
	ds_write_b32 v52, v142 offset:25856                        // 00000000C128: D81A6500 00008E34
	ds_write_b32 v52, v143 offset:34048                        // 00000000C130: D81A8500 00008F34
	s_waitcnt lgkmcnt(0)                                       // 00000000C138: BF8CC07F
	s_barrier                                                  // 00000000C13C: BF8A0000
	v_lshrrev_b32_e32 v52, 4, v0                               // 00000000C140: 20680084
	v_lshlrev_b32_e32 v53, 6, v52                              // 00000000C144: 246A6886
	v_and_b32_e32 v52, 15, v0                                  // 00000000C148: 2668008F
	v_lshlrev_b32_e32 v52, 1, v52                              // 00000000C14C: 24686881
	v_add_u32_e32 v53, v52, v53                                // 00000000C150: 686A6B34
	v_lshlrev_b32_e32 v52, 2, v53                              // 00000000C154: 24686A82
	ds_read_b64 v[128:129], v52 offset:18688                   // 00000000C158: D8EC4900 80000034
	ds_read_b64 v[130:131], v52 offset:18816                   // 00000000C160: D8EC4980 82000034
	ds_read_b64 v[132:133], v52 offset:19712                   // 00000000C168: D8EC4D00 84000034
	ds_read_b64 v[134:135], v52 offset:19840                   // 00000000C170: D8EC4D80 86000034
	ds_read_b64 v[136:137], v52 offset:20736                   // 00000000C178: D8EC5100 88000034
	ds_read_b64 v[138:139], v52 offset:20864                   // 00000000C180: D8EC5180 8A000034
	ds_read_b64 v[140:141], v52 offset:21760                   // 00000000C188: D8EC5500 8C000034
	ds_read_b64 v[142:143], v52 offset:21888                   // 00000000C190: D8EC5580 8E000034
	ds_read_b64 v[144:145], v52 offset:22784                   // 00000000C198: D8EC5900 90000034
	ds_read_b64 v[146:147], v52 offset:22912                   // 00000000C1A0: D8EC5980 92000034
	ds_read_b64 v[148:149], v52 offset:23808                   // 00000000C1A8: D8EC5D00 94000034
	ds_read_b64 v[150:151], v52 offset:23936                   // 00000000C1B0: D8EC5D80 96000034
	ds_read_b64 v[152:153], v52 offset:24832                   // 00000000C1B8: D8EC6100 98000034
	ds_read_b64 v[154:155], v52 offset:24960                   // 00000000C1C0: D8EC6180 9A000034
	ds_read_b64 v[156:157], v52 offset:25856                   // 00000000C1C8: D8EC6500 9C000034
	ds_read_b64 v[158:159], v52 offset:25984                   // 00000000C1D0: D8EC6580 9E000034
	ds_read_b64 v[160:161], v52 offset:26880                   // 00000000C1D8: D8EC6900 A0000034
	ds_read_b64 v[162:163], v52 offset:27008                   // 00000000C1E0: D8EC6980 A2000034
	ds_read_b64 v[164:165], v52 offset:27904                   // 00000000C1E8: D8EC6D00 A4000034
	ds_read_b64 v[166:167], v52 offset:28032                   // 00000000C1F0: D8EC6D80 A6000034
	ds_read_b64 v[168:169], v52 offset:28928                   // 00000000C1F8: D8EC7100 A8000034
	ds_read_b64 v[170:171], v52 offset:29056                   // 00000000C200: D8EC7180 AA000034
	ds_read_b64 v[172:173], v52 offset:29952                   // 00000000C208: D8EC7500 AC000034
	ds_read_b64 v[174:175], v52 offset:30080                   // 00000000C210: D8EC7580 AE000034
	ds_read_b64 v[176:177], v52 offset:30976                   // 00000000C218: D8EC7900 B0000034
	ds_read_b64 v[178:179], v52 offset:31104                   // 00000000C220: D8EC7980 B2000034
	ds_read_b64 v[180:181], v52 offset:32000                   // 00000000C228: D8EC7D00 B4000034
	ds_read_b64 v[182:183], v52 offset:32128                   // 00000000C230: D8EC7D80 B6000034
	ds_read_b64 v[184:185], v52 offset:33024                   // 00000000C238: D8EC8100 B8000034
	ds_read_b64 v[186:187], v52 offset:33152                   // 00000000C240: D8EC8180 BA000034
	ds_read_b64 v[188:189], v52 offset:34048                   // 00000000C248: D8EC8500 BC000034
	ds_read_b64 v[190:191], v52 offset:34176                   // 00000000C250: D8EC8580 BE000034
	s_add_u32 s12, s56, s12                                    // 00000000C258: 800C0C38
	s_addc_u32 s13, 0, s13                                     // 00000000C25C: 820D0D80
	s_add_u32 s16, s79, s16                                    // 00000000C260: 8010104F
	s_addc_u32 s17, 0, s17                                     // 00000000C264: 82111180
	s_mov_b32 s80, 0                                           // 00000000C268: BED00080
	s_waitcnt vmcnt(0) expcnt(0) lgkmcnt(0)                    // 00000000C26C: BF8C0000

000000000000c270 <label_251C>:
	s_waitcnt vmcnt(45)                                        // 00000000C270: BF8C8F7D
	s_barrier                                                  // 00000000C274: BF8A0000
	v_mfma_i32_16x16x32_i8 v[192:195], a[0:1], v[128:129], 0   // 00000000C278: D3D700C0 0A030100
	buffer_load_dwordx4 a[128:131], v42, s[12:15], 0 offen     // 00000000C280: E05C1000 8083802A
	v_mfma_i32_16x16x32_i8 v[192:195], a[2:3], v[130:131], v[192:195]// 00000000C288: D3D700C0 0F030502
	v_mfma_i32_16x16x32_i8 v[196:199], a[0:1], v[160:161], 0   // 00000000C290: D3D700C4 0A034100
	v_mfma_i32_16x16x32_i8 v[196:199], a[2:3], v[162:163], v[196:199]// 00000000C298: D3D700C4 0F134502
	v_mfma_i32_16x16x32_i8 v[200:203], a[4:5], v[128:129], 0   // 00000000C2A0: D3D700C8 0A030104
	buffer_load_dwordx4 a[132:135], v43, s[12:15], 0 offen     // 00000000C2A8: E05C1000 8083842B
	v_mfma_i32_16x16x32_i8 v[200:203], a[6:7], v[130:131], v[200:203]// 00000000C2B0: D3D700C8 0F230506
	v_mfma_i32_16x16x32_i8 v[204:207], a[4:5], v[160:161], 0   // 00000000C2B8: D3D700CC 0A034104
	v_mfma_i32_16x16x32_i8 v[204:207], a[6:7], v[162:163], v[204:207]// 00000000C2C0: D3D700CC 0F334506
	v_mfma_i32_16x16x32_i8 v[208:211], a[8:9], v[128:129], 0   // 00000000C2C8: D3D700D0 0A030108
	buffer_load_dwordx4 a[136:139], v44, s[12:15], 0 offen     // 00000000C2D0: E05C1000 8083882C
	v_mfma_i32_16x16x32_i8 v[208:211], a[10:11], v[130:131], v[208:211]// 00000000C2D8: D3D700D0 0F43050A
	v_mfma_i32_16x16x32_i8 v[212:215], a[8:9], v[160:161], 0   // 00000000C2E0: D3D700D4 0A034108
	v_mfma_i32_16x16x32_i8 v[212:215], a[10:11], v[162:163], v[212:215]// 00000000C2E8: D3D700D4 0F53450A
	v_mfma_i32_16x16x32_i8 v[216:219], a[12:13], v[128:129], 0 // 00000000C2F0: D3D700D8 0A03010C
	buffer_load_dwordx4 a[140:143], v45, s[12:15], 0 offen     // 00000000C2F8: E05C1000 80838C2D
	s_add_u32 s12, s78, s12                                    // 00000000C300: 800C0C4E
	s_addc_u32 s13, 0, s13                                     // 00000000C304: 820D0D80
	v_mfma_i32_16x16x32_i8 v[216:219], a[14:15], v[130:131], v[216:219]// 00000000C308: D3D700D8 0F63050E
	v_mfma_i32_16x16x32_i8 v[220:223], a[12:13], v[160:161], 0 // 00000000C310: D3D700DC 0A03410C
	v_mfma_i32_16x16x32_i8 v[220:223], a[14:15], v[162:163], v[220:223]// 00000000C318: D3D700DC 0F73450E
	s_waitcnt vmcnt(45)                                        // 00000000C320: BF8C8F7D
	v_mfma_i32_16x16x32_i8 v[192:195], a[16:17], v[132:133], v[192:195]// 00000000C324: D3D700C0 0F030910
	buffer_load_dwordx4 a[144:147], v42, s[12:15], 0 offen     // 00000000C32C: E05C1000 8083902A
	v_mfma_i32_16x16x32_i8 v[192:195], a[18:19], v[134:135], v[192:195]// 00000000C334: D3D700C0 0F030D12
	v_mfma_i32_16x16x32_i8 v[196:199], a[16:17], v[164:165], v[196:199]// 00000000C33C: D3D700C4 0F134910
	v_mfma_i32_16x16x32_i8 v[196:199], a[18:19], v[166:167], v[196:199]// 00000000C344: D3D700C4 0F134D12
	v_mfma_i32_16x16x32_i8 v[200:203], a[20:21], v[132:133], v[200:203]// 00000000C34C: D3D700C8 0F230914
	buffer_load_dwordx4 a[148:151], v43, s[12:15], 0 offen     // 00000000C354: E05C1000 8083942B
	v_mfma_i32_16x16x32_i8 v[200:203], a[22:23], v[134:135], v[200:203]// 00000000C35C: D3D700C8 0F230D16
	v_mfma_i32_16x16x32_i8 v[204:207], a[20:21], v[164:165], v[204:207]// 00000000C364: D3D700CC 0F334914
	v_mfma_i32_16x16x32_i8 v[204:207], a[22:23], v[166:167], v[204:207]// 00000000C36C: D3D700CC 0F334D16
	v_mfma_i32_16x16x32_i8 v[208:211], a[24:25], v[132:133], v[208:211]// 00000000C374: D3D700D0 0F430918
	buffer_load_dwordx4 a[152:155], v44, s[12:15], 0 offen     // 00000000C37C: E05C1000 8083982C
	v_mfma_i32_16x16x32_i8 v[208:211], a[26:27], v[134:135], v[208:211]// 00000000C384: D3D700D0 0F430D1A
	v_mfma_i32_16x16x32_i8 v[212:215], a[24:25], v[164:165], v[212:215]// 00000000C38C: D3D700D4 0F534918
	v_mfma_i32_16x16x32_i8 v[212:215], a[26:27], v[166:167], v[212:215]// 00000000C394: D3D700D4 0F534D1A
	v_mfma_i32_16x16x32_i8 v[216:219], a[28:29], v[132:133], v[216:219]// 00000000C39C: D3D700D8 0F63091C
	buffer_load_dwordx4 a[156:159], v45, s[12:15], 0 offen     // 00000000C3A4: E05C1000 80839C2D
	s_add_u32 s12, s78, s12                                    // 00000000C3AC: 800C0C4E
	s_addc_u32 s13, 0, s13                                     // 00000000C3B0: 820D0D80
	v_mfma_i32_16x16x32_i8 v[216:219], a[30:31], v[134:135], v[216:219]// 00000000C3B4: D3D700D8 0F630D1E
	v_mfma_i32_16x16x32_i8 v[220:223], a[28:29], v[164:165], v[220:223]// 00000000C3BC: D3D700DC 0F73491C
	v_mfma_i32_16x16x32_i8 v[220:223], a[30:31], v[166:167], v[220:223]// 00000000C3C4: D3D700DC 0F734D1E
	s_waitcnt vmcnt(45)                                        // 00000000C3CC: BF8C8F7D
	v_mfma_i32_16x16x32_i8 v[192:195], a[32:33], v[136:137], v[192:195]// 00000000C3D0: D3D700C0 0F031120
	buffer_load_dwordx4 a[160:163], v42, s[12:15], 0 offen     // 00000000C3D8: E05C1000 8083A02A
	v_mfma_i32_16x16x32_i8 v[192:195], a[34:35], v[138:139], v[192:195]// 00000000C3E0: D3D700C0 0F031522
	v_mfma_i32_16x16x32_i8 v[196:199], a[32:33], v[168:169], v[196:199]// 00000000C3E8: D3D700C4 0F135120
	v_mfma_i32_16x16x32_i8 v[196:199], a[34:35], v[170:171], v[196:199]// 00000000C3F0: D3D700C4 0F135522
	v_mfma_i32_16x16x32_i8 v[200:203], a[36:37], v[136:137], v[200:203]// 00000000C3F8: D3D700C8 0F231124
	buffer_load_dwordx4 a[164:167], v43, s[12:15], 0 offen     // 00000000C400: E05C1000 8083A42B
	v_mfma_i32_16x16x32_i8 v[200:203], a[38:39], v[138:139], v[200:203]// 00000000C408: D3D700C8 0F231526
	v_mfma_i32_16x16x32_i8 v[204:207], a[36:37], v[168:169], v[204:207]// 00000000C410: D3D700CC 0F335124
	v_mfma_i32_16x16x32_i8 v[204:207], a[38:39], v[170:171], v[204:207]// 00000000C418: D3D700CC 0F335526
	v_mfma_i32_16x16x32_i8 v[208:211], a[40:41], v[136:137], v[208:211]// 00000000C420: D3D700D0 0F431128
	buffer_load_dwordx4 a[168:171], v44, s[12:15], 0 offen     // 00000000C428: E05C1000 8083A82C
	v_mfma_i32_16x16x32_i8 v[208:211], a[42:43], v[138:139], v[208:211]// 00000000C430: D3D700D0 0F43152A
	v_mfma_i32_16x16x32_i8 v[212:215], a[40:41], v[168:169], v[212:215]// 00000000C438: D3D700D4 0F535128
	v_mfma_i32_16x16x32_i8 v[212:215], a[42:43], v[170:171], v[212:215]// 00000000C440: D3D700D4 0F53552A
	v_mfma_i32_16x16x32_i8 v[216:219], a[44:45], v[136:137], v[216:219]// 00000000C448: D3D700D8 0F63112C
	buffer_load_dwordx4 a[172:175], v45, s[12:15], 0 offen     // 00000000C450: E05C1000 8083AC2D
	s_add_u32 s12, s78, s12                                    // 00000000C458: 800C0C4E
	s_addc_u32 s13, 0, s13                                     // 00000000C45C: 820D0D80
	v_mfma_i32_16x16x32_i8 v[216:219], a[46:47], v[138:139], v[216:219]// 00000000C460: D3D700D8 0F63152E
	v_mfma_i32_16x16x32_i8 v[220:223], a[44:45], v[168:169], v[220:223]// 00000000C468: D3D700DC 0F73512C
	v_mfma_i32_16x16x32_i8 v[220:223], a[46:47], v[170:171], v[220:223]// 00000000C470: D3D700DC 0F73552E
	s_waitcnt vmcnt(45)                                        // 00000000C478: BF8C8F7D
	v_mfma_i32_16x16x32_i8 v[192:195], a[48:49], v[140:141], v[192:195]// 00000000C47C: D3D700C0 0F031930
	buffer_load_dwordx4 a[176:179], v42, s[12:15], 0 offen     // 00000000C484: E05C1000 8083B02A
	v_mfma_i32_16x16x32_i8 v[192:195], a[50:51], v[142:143], v[192:195]// 00000000C48C: D3D700C0 0F031D32
	v_mfma_i32_16x16x32_i8 v[196:199], a[48:49], v[172:173], v[196:199]// 00000000C494: D3D700C4 0F135930
	v_mfma_i32_16x16x32_i8 v[196:199], a[50:51], v[174:175], v[196:199]// 00000000C49C: D3D700C4 0F135D32
	v_mfma_i32_16x16x32_i8 v[200:203], a[52:53], v[140:141], v[200:203]// 00000000C4A4: D3D700C8 0F231934
	buffer_load_dwordx4 a[180:183], v43, s[12:15], 0 offen     // 00000000C4AC: E05C1000 8083B42B
	v_mfma_i32_16x16x32_i8 v[200:203], a[54:55], v[142:143], v[200:203]// 00000000C4B4: D3D700C8 0F231D36
	v_mfma_i32_16x16x32_i8 v[204:207], a[52:53], v[172:173], v[204:207]// 00000000C4BC: D3D700CC 0F335934
	v_mfma_i32_16x16x32_i8 v[204:207], a[54:55], v[174:175], v[204:207]// 00000000C4C4: D3D700CC 0F335D36
	v_mfma_i32_16x16x32_i8 v[208:211], a[56:57], v[140:141], v[208:211]// 00000000C4CC: D3D700D0 0F431938
	buffer_load_dwordx4 a[184:187], v44, s[12:15], 0 offen     // 00000000C4D4: E05C1000 8083B82C
	v_mfma_i32_16x16x32_i8 v[208:211], a[58:59], v[142:143], v[208:211]// 00000000C4DC: D3D700D0 0F431D3A
	v_mfma_i32_16x16x32_i8 v[212:215], a[56:57], v[172:173], v[212:215]// 00000000C4E4: D3D700D4 0F535938
	v_mfma_i32_16x16x32_i8 v[212:215], a[58:59], v[174:175], v[212:215]// 00000000C4EC: D3D700D4 0F535D3A
	v_mfma_i32_16x16x32_i8 v[216:219], a[60:61], v[140:141], v[216:219]// 00000000C4F4: D3D700D8 0F63193C
	buffer_load_dwordx4 a[188:191], v45, s[12:15], 0 offen     // 00000000C4FC: E05C1000 8083BC2D
	s_add_u32 s12, s78, s12                                    // 00000000C504: 800C0C4E
	s_addc_u32 s13, 0, s13                                     // 00000000C508: 820D0D80
	v_mfma_i32_16x16x32_i8 v[216:219], a[62:63], v[142:143], v[216:219]// 00000000C50C: D3D700D8 0F631D3E
	v_mfma_i32_16x16x32_i8 v[220:223], a[60:61], v[172:173], v[220:223]// 00000000C514: D3D700DC 0F73593C
	v_mfma_i32_16x16x32_i8 v[220:223], a[62:63], v[174:175], v[220:223]// 00000000C51C: D3D700DC 0F735D3E
	s_waitcnt vmcnt(45)                                        // 00000000C524: BF8C8F7D
	v_mfma_i32_16x16x32_i8 v[192:195], a[64:65], v[144:145], v[192:195]// 00000000C528: D3D700C0 0F032140
	buffer_load_dwordx4 a[192:195], v42, s[12:15], 0 offen     // 00000000C530: E05C1000 8083C02A
	v_mfma_i32_16x16x32_i8 v[192:195], a[66:67], v[146:147], v[192:195]// 00000000C538: D3D700C0 0F032542
	v_mfma_i32_16x16x32_i8 v[196:199], a[64:65], v[176:177], v[196:199]// 00000000C540: D3D700C4 0F136140
	v_mfma_i32_16x16x32_i8 v[196:199], a[66:67], v[178:179], v[196:199]// 00000000C548: D3D700C4 0F136542
	v_mfma_i32_16x16x32_i8 v[200:203], a[68:69], v[144:145], v[200:203]// 00000000C550: D3D700C8 0F232144
	buffer_load_dwordx4 a[196:199], v43, s[12:15], 0 offen     // 00000000C558: E05C1000 8083C42B
	v_mfma_i32_16x16x32_i8 v[200:203], a[70:71], v[146:147], v[200:203]// 00000000C560: D3D700C8 0F232546
	v_mfma_i32_16x16x32_i8 v[204:207], a[68:69], v[176:177], v[204:207]// 00000000C568: D3D700CC 0F336144
	v_mfma_i32_16x16x32_i8 v[204:207], a[70:71], v[178:179], v[204:207]// 00000000C570: D3D700CC 0F336546
	v_mfma_i32_16x16x32_i8 v[208:211], a[72:73], v[144:145], v[208:211]// 00000000C578: D3D700D0 0F432148
	buffer_load_dwordx4 a[200:203], v44, s[12:15], 0 offen     // 00000000C580: E05C1000 8083C82C
	v_mfma_i32_16x16x32_i8 v[208:211], a[74:75], v[146:147], v[208:211]// 00000000C588: D3D700D0 0F43254A
	v_mfma_i32_16x16x32_i8 v[212:215], a[72:73], v[176:177], v[212:215]// 00000000C590: D3D700D4 0F536148
	v_mfma_i32_16x16x32_i8 v[212:215], a[74:75], v[178:179], v[212:215]// 00000000C598: D3D700D4 0F53654A
	v_mfma_i32_16x16x32_i8 v[216:219], a[76:77], v[144:145], v[216:219]// 00000000C5A0: D3D700D8 0F63214C
	buffer_load_dwordx4 a[204:207], v45, s[12:15], 0 offen     // 00000000C5A8: E05C1000 8083CC2D
	s_add_u32 s12, s78, s12                                    // 00000000C5B0: 800C0C4E
	s_addc_u32 s13, 0, s13                                     // 00000000C5B4: 820D0D80
	v_mfma_i32_16x16x32_i8 v[216:219], a[78:79], v[146:147], v[216:219]// 00000000C5B8: D3D700D8 0F63254E
	v_mfma_i32_16x16x32_i8 v[220:223], a[76:77], v[176:177], v[220:223]// 00000000C5C0: D3D700DC 0F73614C
	v_mfma_i32_16x16x32_i8 v[220:223], a[78:79], v[178:179], v[220:223]// 00000000C5C8: D3D700DC 0F73654E
	s_waitcnt vmcnt(45)                                        // 00000000C5D0: BF8C8F7D
	v_mfma_i32_16x16x32_i8 v[192:195], a[80:81], v[148:149], v[192:195]// 00000000C5D4: D3D700C0 0F032950
	buffer_load_dwordx4 a[208:211], v42, s[12:15], 0 offen     // 00000000C5DC: E05C1000 8083D02A
	v_mfma_i32_16x16x32_i8 v[192:195], a[82:83], v[150:151], v[192:195]// 00000000C5E4: D3D700C0 0F032D52
	v_mfma_i32_16x16x32_i8 v[196:199], a[80:81], v[180:181], v[196:199]// 00000000C5EC: D3D700C4 0F136950
	v_mfma_i32_16x16x32_i8 v[196:199], a[82:83], v[182:183], v[196:199]// 00000000C5F4: D3D700C4 0F136D52
	v_mfma_i32_16x16x32_i8 v[200:203], a[84:85], v[148:149], v[200:203]// 00000000C5FC: D3D700C8 0F232954
	buffer_load_dwordx4 a[212:215], v43, s[12:15], 0 offen     // 00000000C604: E05C1000 8083D42B
	v_mfma_i32_16x16x32_i8 v[200:203], a[86:87], v[150:151], v[200:203]// 00000000C60C: D3D700C8 0F232D56
	v_mfma_i32_16x16x32_i8 v[204:207], a[84:85], v[180:181], v[204:207]// 00000000C614: D3D700CC 0F336954
	v_mfma_i32_16x16x32_i8 v[204:207], a[86:87], v[182:183], v[204:207]// 00000000C61C: D3D700CC 0F336D56
	v_mfma_i32_16x16x32_i8 v[208:211], a[88:89], v[148:149], v[208:211]// 00000000C624: D3D700D0 0F432958
	buffer_load_dwordx4 a[216:219], v44, s[12:15], 0 offen     // 00000000C62C: E05C1000 8083D82C
	v_mfma_i32_16x16x32_i8 v[208:211], a[90:91], v[150:151], v[208:211]// 00000000C634: D3D700D0 0F432D5A
	v_mfma_i32_16x16x32_i8 v[212:215], a[88:89], v[180:181], v[212:215]// 00000000C63C: D3D700D4 0F536958
	v_mfma_i32_16x16x32_i8 v[212:215], a[90:91], v[182:183], v[212:215]// 00000000C644: D3D700D4 0F536D5A
	v_mfma_i32_16x16x32_i8 v[216:219], a[92:93], v[148:149], v[216:219]// 00000000C64C: D3D700D8 0F63295C
	buffer_load_dwordx4 a[220:223], v45, s[12:15], 0 offen     // 00000000C654: E05C1000 8083DC2D
	s_add_u32 s12, s78, s12                                    // 00000000C65C: 800C0C4E
	s_addc_u32 s13, 0, s13                                     // 00000000C660: 820D0D80
	v_mfma_i32_16x16x32_i8 v[216:219], a[94:95], v[150:151], v[216:219]// 00000000C664: D3D700D8 0F632D5E
	v_mfma_i32_16x16x32_i8 v[220:223], a[92:93], v[180:181], v[220:223]// 00000000C66C: D3D700DC 0F73695C
	v_mfma_i32_16x16x32_i8 v[220:223], a[94:95], v[182:183], v[220:223]// 00000000C674: D3D700DC 0F736D5E
	s_waitcnt vmcnt(45)                                        // 00000000C67C: BF8C8F7D
	v_mfma_i32_16x16x32_i8 v[192:195], a[96:97], v[152:153], v[192:195]// 00000000C680: D3D700C0 0F033160
	buffer_load_dwordx4 a[224:227], v42, s[12:15], 0 offen     // 00000000C688: E05C1000 8083E02A
	v_mfma_i32_16x16x32_i8 v[192:195], a[98:99], v[154:155], v[192:195]// 00000000C690: D3D700C0 0F033562
	v_mfma_i32_16x16x32_i8 v[196:199], a[96:97], v[184:185], v[196:199]// 00000000C698: D3D700C4 0F137160
	v_mfma_i32_16x16x32_i8 v[196:199], a[98:99], v[186:187], v[196:199]// 00000000C6A0: D3D700C4 0F137562
	v_mfma_i32_16x16x32_i8 v[200:203], a[100:101], v[152:153], v[200:203]// 00000000C6A8: D3D700C8 0F233164
	buffer_load_dwordx4 a[228:231], v43, s[12:15], 0 offen     // 00000000C6B0: E05C1000 8083E42B
	v_mfma_i32_16x16x32_i8 v[200:203], a[102:103], v[154:155], v[200:203]// 00000000C6B8: D3D700C8 0F233566
	v_mfma_i32_16x16x32_i8 v[204:207], a[100:101], v[184:185], v[204:207]// 00000000C6C0: D3D700CC 0F337164
	v_mfma_i32_16x16x32_i8 v[204:207], a[102:103], v[186:187], v[204:207]// 00000000C6C8: D3D700CC 0F337566
	v_mfma_i32_16x16x32_i8 v[208:211], a[104:105], v[152:153], v[208:211]// 00000000C6D0: D3D700D0 0F433168
	buffer_load_dwordx4 a[232:235], v44, s[12:15], 0 offen     // 00000000C6D8: E05C1000 8083E82C
	v_mfma_i32_16x16x32_i8 v[208:211], a[106:107], v[154:155], v[208:211]// 00000000C6E0: D3D700D0 0F43356A
	v_mfma_i32_16x16x32_i8 v[212:215], a[104:105], v[184:185], v[212:215]// 00000000C6E8: D3D700D4 0F537168
	v_mfma_i32_16x16x32_i8 v[212:215], a[106:107], v[186:187], v[212:215]// 00000000C6F0: D3D700D4 0F53756A
	v_mfma_i32_16x16x32_i8 v[216:219], a[108:109], v[152:153], v[216:219]// 00000000C6F8: D3D700D8 0F63316C
	buffer_load_dwordx4 a[236:239], v45, s[12:15], 0 offen     // 00000000C700: E05C1000 8083EC2D
	s_add_u32 s12, s78, s12                                    // 00000000C708: 800C0C4E
	s_addc_u32 s13, 0, s13                                     // 00000000C70C: 820D0D80
	v_mfma_i32_16x16x32_i8 v[216:219], a[110:111], v[154:155], v[216:219]// 00000000C710: D3D700D8 0F63356E
	v_mfma_i32_16x16x32_i8 v[220:223], a[108:109], v[184:185], v[220:223]// 00000000C718: D3D700DC 0F73716C
	v_mfma_i32_16x16x32_i8 v[220:223], a[110:111], v[186:187], v[220:223]// 00000000C720: D3D700DC 0F73756E
	s_waitcnt vmcnt(44)                                        // 00000000C728: BF8C8F7C
	v_mfma_i32_16x16x32_i8 v[192:195], a[112:113], v[156:157], v[192:195]// 00000000C72C: D3D700C0 0F033970
	buffer_load_dwordx4 a[240:243], v42, s[12:15], 0 offen     // 00000000C734: E05C1000 8083F02A
	v_mfma_i32_16x16x32_i8 v[192:195], a[114:115], v[158:159], v[192:195]// 00000000C73C: D3D700C0 0F033D72
	v_mfma_i32_16x16x32_i8 v[196:199], a[112:113], v[188:189], v[196:199]// 00000000C744: D3D700C4 0F137970
	buffer_load_dword v13, v5, s[16:19], 0 offen               // 00000000C74C: E0501000 80040D05
	v_mfma_i32_16x16x32_i8 v[196:199], a[114:115], v[190:191], v[196:199]// 00000000C754: D3D700C4 0F137D72
	v_mfma_i32_16x16x32_i8 v[200:203], a[116:117], v[156:157], v[200:203]// 00000000C75C: D3D700C8 0F233974
	buffer_load_dwordx4 a[244:247], v43, s[12:15], 0 offen     // 00000000C764: E05C1000 8083F42B
	v_mfma_i32_16x16x32_i8 v[200:203], a[118:119], v[158:159], v[200:203]// 00000000C76C: D3D700C8 0F233D76
	v_mfma_i32_16x16x32_i8 v[204:207], a[116:117], v[188:189], v[204:207]// 00000000C774: D3D700CC 0F337974
	v_mfma_i32_16x16x32_i8 v[204:207], a[118:119], v[190:191], v[204:207]// 00000000C77C: D3D700CC 0F337D76
	v_mfma_i32_16x16x32_i8 v[208:211], a[120:121], v[156:157], v[208:211]// 00000000C784: D3D700D0 0F433978
	buffer_load_dwordx4 a[248:251], v44, s[12:15], 0 offen     // 00000000C78C: E05C1000 8083F82C
	v_mfma_i32_16x16x32_i8 v[208:211], a[122:123], v[158:159], v[208:211]// 00000000C794: D3D700D0 0F433D7A
	v_mfma_i32_16x16x32_i8 v[212:215], a[120:121], v[188:189], v[212:215]// 00000000C79C: D3D700D4 0F537978
	v_mfma_i32_16x16x32_i8 v[212:215], a[122:123], v[190:191], v[212:215]// 00000000C7A4: D3D700D4 0F537D7A
	v_mfma_i32_16x16x32_i8 v[216:219], a[124:125], v[156:157], v[216:219]// 00000000C7AC: D3D700D8 0F63397C
	buffer_load_dwordx4 a[252:255], v45, s[12:15], 0 offen     // 00000000C7B4: E05C1000 8083FC2D
	v_mfma_i32_16x16x32_i8 v[216:219], a[126:127], v[158:159], v[216:219]// 00000000C7BC: D3D700D8 0F633D7E
	v_mfma_i32_16x16x32_i8 v[220:223], a[124:125], v[188:189], v[220:223]// 00000000C7C4: D3D700DC 0F73797C
	v_mfma_i32_16x16x32_i8 v[220:223], a[126:127], v[190:191], v[220:223]// 00000000C7CC: D3D700DC 0F737D7E
	s_add_u32 s60, 0x200, s80                                  // 00000000C7D4: 803C50FF 00000200
	s_cmp_lt_u32 s60, s81                                      // 00000000C7DC: BF0A513C
	s_cselect_b32 s56, s56, 0                                  // 00000000C7E0: 85388038
	s_cselect_b32 s78, s78, 0                                  // 00000000C7E4: 854E804E
	s_cselect_b32 s79, s79, 0                                  // 00000000C7E8: 854F804F
	s_add_u32 s12, s56, s12                                    // 00000000C7EC: 800C0C38
	s_addc_u32 s13, 0, s13                                     // 00000000C7F0: 820D0D80
	s_add_u32 s16, s79, s16                                    // 00000000C7F4: 8010104F
	s_addc_u32 s17, 0, s17                                     // 00000000C7F8: 82111180
	v_cvt_f32_i32_e32 v192, v192                               // 00000000C7FC: 7F800BC0
	v_cvt_f32_i32_e32 v193, v193                               // 00000000C800: 7F820BC1
	v_cvt_f32_i32_e32 v194, v194                               // 00000000C804: 7F840BC2
	v_cvt_f32_i32_e32 v195, v195                               // 00000000C808: 7F860BC3
	v_mul_f32_e32 v192, v24, v192                              // 00000000C80C: 0B818118
	v_mul_f32_e32 v193, v24, v193                              // 00000000C810: 0B838318
	v_mul_f32_e32 v194, v24, v194                              // 00000000C814: 0B858518
	v_mul_f32_e32 v195, v24, v195                              // 00000000C818: 0B878718
	v_mul_f32_dpp v192, v12, v192 row_newbcast:0 row_mask:0xf bank_mask:0xf// 00000000C81C: 0B8180FA FF01500C
	v_mul_f32_dpp v193, v12, v193 row_newbcast:1 row_mask:0xf bank_mask:0xf// 00000000C824: 0B8382FA FF01510C
	v_mul_f32_dpp v194, v12, v194 row_newbcast:2 row_mask:0xf bank_mask:0xf// 00000000C82C: 0B8584FA FF01520C
	v_mul_f32_dpp v195, v12, v195 row_newbcast:3 row_mask:0xf bank_mask:0xf// 00000000C834: 0B8786FA FF01530C
	v_mul_f32_e32 v192, v20, v192                              // 00000000C83C: 0B818114
	v_mul_f32_e32 v193, v20, v193                              // 00000000C840: 0B838314
	v_mul_f32_e32 v194, v20, v194                              // 00000000C844: 0B858514
	v_mul_f32_e32 v195, v20, v195                              // 00000000C848: 0B878714
	v_cvt_f32_i32_e32 v196, v196                               // 00000000C84C: 7F880BC4
	v_cvt_f32_i32_e32 v197, v197                               // 00000000C850: 7F8A0BC5
	v_cvt_f32_i32_e32 v198, v198                               // 00000000C854: 7F8C0BC6
	v_cvt_f32_i32_e32 v199, v199                               // 00000000C858: 7F8E0BC7
	v_mul_f32_e32 v196, v25, v196                              // 00000000C85C: 0B898919
	v_mul_f32_e32 v197, v25, v197                              // 00000000C860: 0B8B8B19
	v_mul_f32_e32 v198, v25, v198                              // 00000000C864: 0B8D8D19
	v_mul_f32_e32 v199, v25, v199                              // 00000000C868: 0B8F8F19
	v_mul_f32_dpp v196, v12, v196 row_newbcast:0 row_mask:0xf bank_mask:0xf// 00000000C86C: 0B8988FA FF01500C
	v_mul_f32_dpp v197, v12, v197 row_newbcast:1 row_mask:0xf bank_mask:0xf// 00000000C874: 0B8B8AFA FF01510C
	v_mul_f32_dpp v198, v12, v198 row_newbcast:2 row_mask:0xf bank_mask:0xf// 00000000C87C: 0B8D8CFA FF01520C
	v_mul_f32_dpp v199, v12, v199 row_newbcast:3 row_mask:0xf bank_mask:0xf// 00000000C884: 0B8F8EFA FF01530C
	v_mul_f32_e32 v196, v21, v196                              // 00000000C88C: 0B898915
	v_mul_f32_e32 v197, v21, v197                              // 00000000C890: 0B8B8B15
	v_mul_f32_e32 v198, v21, v198                              // 00000000C894: 0B8D8D15
	v_mul_f32_e32 v199, v21, v199                              // 00000000C898: 0B8F8F15
	v_cvt_f32_i32_e32 v200, v200                               // 00000000C89C: 7F900BC8
	v_cvt_f32_i32_e32 v201, v201                               // 00000000C8A0: 7F920BC9
	v_cvt_f32_i32_e32 v202, v202                               // 00000000C8A4: 7F940BCA
	v_cvt_f32_i32_e32 v203, v203                               // 00000000C8A8: 7F960BCB
	v_mul_f32_e32 v200, v24, v200                              // 00000000C8AC: 0B919118
	v_mul_f32_e32 v201, v24, v201                              // 00000000C8B0: 0B939318
	v_mul_f32_e32 v202, v24, v202                              // 00000000C8B4: 0B959518
	v_mul_f32_e32 v203, v24, v203                              // 00000000C8B8: 0B979718
	v_mul_f32_dpp v200, v12, v200 row_newbcast:4 row_mask:0xf bank_mask:0xf// 00000000C8BC: 0B9190FA FF01540C
	v_mul_f32_dpp v201, v12, v201 row_newbcast:5 row_mask:0xf bank_mask:0xf// 00000000C8C4: 0B9392FA FF01550C
	v_mul_f32_dpp v202, v12, v202 row_newbcast:6 row_mask:0xf bank_mask:0xf// 00000000C8CC: 0B9594FA FF01560C
	v_mul_f32_dpp v203, v12, v203 row_newbcast:7 row_mask:0xf bank_mask:0xf// 00000000C8D4: 0B9796FA FF01570C
	v_mul_f32_e32 v200, v20, v200                              // 00000000C8DC: 0B919114
	v_mul_f32_e32 v201, v20, v201                              // 00000000C8E0: 0B939314
	v_mul_f32_e32 v202, v20, v202                              // 00000000C8E4: 0B959514
	v_mul_f32_e32 v203, v20, v203                              // 00000000C8E8: 0B979714
	v_cvt_f32_i32_e32 v204, v204                               // 00000000C8EC: 7F980BCC
	v_cvt_f32_i32_e32 v205, v205                               // 00000000C8F0: 7F9A0BCD
	v_cvt_f32_i32_e32 v206, v206                               // 00000000C8F4: 7F9C0BCE
	v_cvt_f32_i32_e32 v207, v207                               // 00000000C8F8: 7F9E0BCF
	v_mul_f32_e32 v204, v25, v204                              // 00000000C8FC: 0B999919
	v_mul_f32_e32 v205, v25, v205                              // 00000000C900: 0B9B9B19
	v_mul_f32_e32 v206, v25, v206                              // 00000000C904: 0B9D9D19
	v_mul_f32_e32 v207, v25, v207                              // 00000000C908: 0B9F9F19
	v_mul_f32_dpp v204, v12, v204 row_newbcast:4 row_mask:0xf bank_mask:0xf// 00000000C90C: 0B9998FA FF01540C
	v_mul_f32_dpp v205, v12, v205 row_newbcast:5 row_mask:0xf bank_mask:0xf// 00000000C914: 0B9B9AFA FF01550C
	v_mul_f32_dpp v206, v12, v206 row_newbcast:6 row_mask:0xf bank_mask:0xf// 00000000C91C: 0B9D9CFA FF01560C
	v_mul_f32_dpp v207, v12, v207 row_newbcast:7 row_mask:0xf bank_mask:0xf// 00000000C924: 0B9F9EFA FF01570C
	v_mul_f32_e32 v204, v21, v204                              // 00000000C92C: 0B999915
	v_mul_f32_e32 v205, v21, v205                              // 00000000C930: 0B9B9B15
	v_mul_f32_e32 v206, v21, v206                              // 00000000C934: 0B9D9D15
	v_mul_f32_e32 v207, v21, v207                              // 00000000C938: 0B9F9F15
	v_cvt_f32_i32_e32 v208, v208                               // 00000000C93C: 7FA00BD0
	v_cvt_f32_i32_e32 v209, v209                               // 00000000C940: 7FA20BD1
	v_cvt_f32_i32_e32 v210, v210                               // 00000000C944: 7FA40BD2
	v_cvt_f32_i32_e32 v211, v211                               // 00000000C948: 7FA60BD3
	v_mul_f32_e32 v208, v24, v208                              // 00000000C94C: 0BA1A118
	v_mul_f32_e32 v209, v24, v209                              // 00000000C950: 0BA3A318
	v_mul_f32_e32 v210, v24, v210                              // 00000000C954: 0BA5A518
	v_mul_f32_e32 v211, v24, v211                              // 00000000C958: 0BA7A718
	v_mul_f32_dpp v208, v12, v208 row_newbcast:8 row_mask:0xf bank_mask:0xf// 00000000C95C: 0BA1A0FA FF01580C
	v_mul_f32_dpp v209, v12, v209 row_newbcast:9 row_mask:0xf bank_mask:0xf// 00000000C964: 0BA3A2FA FF01590C
	v_mul_f32_dpp v210, v12, v210 row_newbcast:10 row_mask:0xf bank_mask:0xf// 00000000C96C: 0BA5A4FA FF015A0C
	v_mul_f32_dpp v211, v12, v211 row_newbcast:11 row_mask:0xf bank_mask:0xf// 00000000C974: 0BA7A6FA FF015B0C
	v_mul_f32_e32 v208, v20, v208                              // 00000000C97C: 0BA1A114
	v_mul_f32_e32 v209, v20, v209                              // 00000000C980: 0BA3A314
	v_mul_f32_e32 v210, v20, v210                              // 00000000C984: 0BA5A514
	v_mul_f32_e32 v211, v20, v211                              // 00000000C988: 0BA7A714
	v_cvt_f32_i32_e32 v212, v212                               // 00000000C98C: 7FA80BD4
	v_cvt_f32_i32_e32 v213, v213                               // 00000000C990: 7FAA0BD5
	v_cvt_f32_i32_e32 v214, v214                               // 00000000C994: 7FAC0BD6
	v_cvt_f32_i32_e32 v215, v215                               // 00000000C998: 7FAE0BD7
	v_mul_f32_e32 v212, v25, v212                              // 00000000C99C: 0BA9A919
	v_mul_f32_e32 v213, v25, v213                              // 00000000C9A0: 0BABAB19
	v_mul_f32_e32 v214, v25, v214                              // 00000000C9A4: 0BADAD19
	v_mul_f32_e32 v215, v25, v215                              // 00000000C9A8: 0BAFAF19
	v_mul_f32_dpp v212, v12, v212 row_newbcast:8 row_mask:0xf bank_mask:0xf// 00000000C9AC: 0BA9A8FA FF01580C
	v_mul_f32_dpp v213, v12, v213 row_newbcast:9 row_mask:0xf bank_mask:0xf// 00000000C9B4: 0BABAAFA FF01590C
	v_mul_f32_dpp v214, v12, v214 row_newbcast:10 row_mask:0xf bank_mask:0xf// 00000000C9BC: 0BADACFA FF015A0C
	v_mul_f32_dpp v215, v12, v215 row_newbcast:11 row_mask:0xf bank_mask:0xf// 00000000C9C4: 0BAFAEFA FF015B0C
	v_mul_f32_e32 v212, v21, v212                              // 00000000C9CC: 0BA9A915
	v_mul_f32_e32 v213, v21, v213                              // 00000000C9D0: 0BABAB15
	v_mul_f32_e32 v214, v21, v214                              // 00000000C9D4: 0BADAD15
	v_mul_f32_e32 v215, v21, v215                              // 00000000C9D8: 0BAFAF15
	v_cvt_f32_i32_e32 v216, v216                               // 00000000C9DC: 7FB00BD8
	v_cvt_f32_i32_e32 v217, v217                               // 00000000C9E0: 7FB20BD9
	v_cvt_f32_i32_e32 v218, v218                               // 00000000C9E4: 7FB40BDA
	v_cvt_f32_i32_e32 v219, v219                               // 00000000C9E8: 7FB60BDB
	v_mul_f32_e32 v216, v24, v216                              // 00000000C9EC: 0BB1B118
	v_mul_f32_e32 v217, v24, v217                              // 00000000C9F0: 0BB3B318
	v_mul_f32_e32 v218, v24, v218                              // 00000000C9F4: 0BB5B518
	v_mul_f32_e32 v219, v24, v219                              // 00000000C9F8: 0BB7B718
	v_mul_f32_dpp v216, v12, v216 row_newbcast:12 row_mask:0xf bank_mask:0xf// 00000000C9FC: 0BB1B0FA FF015C0C
	v_mul_f32_dpp v217, v12, v217 row_newbcast:13 row_mask:0xf bank_mask:0xf// 00000000CA04: 0BB3B2FA FF015D0C
	v_mul_f32_dpp v218, v12, v218 row_newbcast:14 row_mask:0xf bank_mask:0xf// 00000000CA0C: 0BB5B4FA FF015E0C
	v_mul_f32_dpp v219, v12, v219 row_newbcast:15 row_mask:0xf bank_mask:0xf// 00000000CA14: 0BB7B6FA FF015F0C
	v_mul_f32_e32 v216, v20, v216                              // 00000000CA1C: 0BB1B114
	v_mul_f32_e32 v217, v20, v217                              // 00000000CA20: 0BB3B314
	v_mul_f32_e32 v218, v20, v218                              // 00000000CA24: 0BB5B514
	v_mul_f32_e32 v219, v20, v219                              // 00000000CA28: 0BB7B714
	v_cvt_f32_i32_e32 v220, v220                               // 00000000CA2C: 7FB80BDC
	v_cvt_f32_i32_e32 v221, v221                               // 00000000CA30: 7FBA0BDD
	v_cvt_f32_i32_e32 v222, v222                               // 00000000CA34: 7FBC0BDE
	v_cvt_f32_i32_e32 v223, v223                               // 00000000CA38: 7FBE0BDF
	v_mul_f32_e32 v220, v25, v220                              // 00000000CA3C: 0BB9B919
	v_mul_f32_e32 v221, v25, v221                              // 00000000CA40: 0BBBBB19
	v_mul_f32_e32 v222, v25, v222                              // 00000000CA44: 0BBDBD19
	v_mul_f32_e32 v223, v25, v223                              // 00000000CA48: 0BBFBF19
	v_mul_f32_dpp v220, v12, v220 row_newbcast:12 row_mask:0xf bank_mask:0xf// 00000000CA4C: 0BB9B8FA FF015C0C
	v_mul_f32_dpp v221, v12, v221 row_newbcast:13 row_mask:0xf bank_mask:0xf// 00000000CA54: 0BBBBAFA FF015D0C
	v_mul_f32_dpp v222, v12, v222 row_newbcast:14 row_mask:0xf bank_mask:0xf// 00000000CA5C: 0BBDBCFA FF015E0C
	v_mul_f32_dpp v223, v12, v223 row_newbcast:15 row_mask:0xf bank_mask:0xf// 00000000CA64: 0BBFBEFA FF015F0C
	v_mul_f32_e32 v220, v21, v220                              // 00000000CA6C: 0BB9B915
	v_mul_f32_e32 v221, v21, v221                              // 00000000CA70: 0BBBBB15
	v_mul_f32_e32 v222, v21, v222                              // 00000000CA74: 0BBDBD15
	v_mul_f32_e32 v223, v21, v223                              // 00000000CA78: 0BBFBF15
	v_cmp_u_f32_e64 s[48:49], v192, v192                       // 00000000CA7C: D0480030 000381C0
	v_add3_u32 v46, v192, v49, 1                               // 00000000CA84: D1FF002E 020663C0
	v_cndmask_b32_e64 v52, v46, v48, s[48:49]                  // 00000000CA8C: D1000034 00C2612E
	v_cmp_u_f32_e64 s[48:49], v193, v193                       // 00000000CA94: D0480030 000383C1
	v_add3_u32 v46, v193, v49, 1                               // 00000000CA9C: D1FF002E 020663C1
	v_cndmask_b32_e64 v53, v46, v48, s[48:49]                  // 00000000CAA4: D1000035 00C2612E
	v_perm_b32 v192, v53, v52, s52                             // 00000000CAAC: D1ED00C0 00D26935
	v_cmp_u_f32_e64 s[48:49], v194, v194                       // 00000000CAB4: D0480030 000385C2
	v_add3_u32 v46, v194, v49, 1                               // 00000000CABC: D1FF002E 020663C2
	v_cndmask_b32_e64 v52, v46, v48, s[48:49]                  // 00000000CAC4: D1000034 00C2612E
	v_cmp_u_f32_e64 s[48:49], v195, v195                       // 00000000CACC: D0480030 000387C3
	v_add3_u32 v46, v195, v49, 1                               // 00000000CAD4: D1FF002E 020663C3
	v_cndmask_b32_e64 v53, v46, v48, s[48:49]                  // 00000000CADC: D1000035 00C2612E
	v_perm_b32 v193, v53, v52, s52                             // 00000000CAE4: D1ED00C1 00D26935
	v_cmp_u_f32_e64 s[48:49], v196, v196                       // 00000000CAEC: D0480030 000389C4
	v_add3_u32 v46, v196, v49, 1                               // 00000000CAF4: D1FF002E 020663C4
	v_cndmask_b32_e64 v52, v46, v48, s[48:49]                  // 00000000CAFC: D1000034 00C2612E
	v_cmp_u_f32_e64 s[48:49], v197, v197                       // 00000000CB04: D0480030 00038BC5
	v_add3_u32 v46, v197, v49, 1                               // 00000000CB0C: D1FF002E 020663C5
	v_cndmask_b32_e64 v53, v46, v48, s[48:49]                  // 00000000CB14: D1000035 00C2612E
	v_perm_b32 v194, v53, v52, s52                             // 00000000CB1C: D1ED00C2 00D26935
	v_cmp_u_f32_e64 s[48:49], v198, v198                       // 00000000CB24: D0480030 00038DC6
	v_add3_u32 v46, v198, v49, 1                               // 00000000CB2C: D1FF002E 020663C6
	v_cndmask_b32_e64 v52, v46, v48, s[48:49]                  // 00000000CB34: D1000034 00C2612E
	v_cmp_u_f32_e64 s[48:49], v199, v199                       // 00000000CB3C: D0480030 00038FC7
	v_add3_u32 v46, v199, v49, 1                               // 00000000CB44: D1FF002E 020663C7
	v_cndmask_b32_e64 v53, v46, v48, s[48:49]                  // 00000000CB4C: D1000035 00C2612E
	v_perm_b32 v195, v53, v52, s52                             // 00000000CB54: D1ED00C3 00D26935
	v_cmp_u_f32_e64 s[48:49], v200, v200                       // 00000000CB5C: D0480030 000391C8
	v_add3_u32 v46, v200, v49, 1                               // 00000000CB64: D1FF002E 020663C8
	v_cndmask_b32_e64 v52, v46, v48, s[48:49]                  // 00000000CB6C: D1000034 00C2612E
	v_cmp_u_f32_e64 s[48:49], v201, v201                       // 00000000CB74: D0480030 000393C9
	v_add3_u32 v46, v201, v49, 1                               // 00000000CB7C: D1FF002E 020663C9
	v_cndmask_b32_e64 v53, v46, v48, s[48:49]                  // 00000000CB84: D1000035 00C2612E
	v_perm_b32 v196, v53, v52, s52                             // 00000000CB8C: D1ED00C4 00D26935
	v_cmp_u_f32_e64 s[48:49], v202, v202                       // 00000000CB94: D0480030 000395CA
	v_add3_u32 v46, v202, v49, 1                               // 00000000CB9C: D1FF002E 020663CA
	v_cndmask_b32_e64 v52, v46, v48, s[48:49]                  // 00000000CBA4: D1000034 00C2612E
	v_cmp_u_f32_e64 s[48:49], v203, v203                       // 00000000CBAC: D0480030 000397CB
	v_add3_u32 v46, v203, v49, 1                               // 00000000CBB4: D1FF002E 020663CB
	v_cndmask_b32_e64 v53, v46, v48, s[48:49]                  // 00000000CBBC: D1000035 00C2612E
	v_perm_b32 v197, v53, v52, s52                             // 00000000CBC4: D1ED00C5 00D26935
	v_cmp_u_f32_e64 s[48:49], v204, v204                       // 00000000CBCC: D0480030 000399CC
	v_add3_u32 v46, v204, v49, 1                               // 00000000CBD4: D1FF002E 020663CC
	v_cndmask_b32_e64 v52, v46, v48, s[48:49]                  // 00000000CBDC: D1000034 00C2612E
	v_cmp_u_f32_e64 s[48:49], v205, v205                       // 00000000CBE4: D0480030 00039BCD
	v_add3_u32 v46, v205, v49, 1                               // 00000000CBEC: D1FF002E 020663CD
	v_cndmask_b32_e64 v53, v46, v48, s[48:49]                  // 00000000CBF4: D1000035 00C2612E
	v_perm_b32 v198, v53, v52, s52                             // 00000000CBFC: D1ED00C6 00D26935
	v_cmp_u_f32_e64 s[48:49], v206, v206                       // 00000000CC04: D0480030 00039DCE
	v_add3_u32 v46, v206, v49, 1                               // 00000000CC0C: D1FF002E 020663CE
	v_cndmask_b32_e64 v52, v46, v48, s[48:49]                  // 00000000CC14: D1000034 00C2612E
	v_cmp_u_f32_e64 s[48:49], v207, v207                       // 00000000CC1C: D0480030 00039FCF
	v_add3_u32 v46, v207, v49, 1                               // 00000000CC24: D1FF002E 020663CF
	v_cndmask_b32_e64 v53, v46, v48, s[48:49]                  // 00000000CC2C: D1000035 00C2612E
	v_perm_b32 v199, v53, v52, s52                             // 00000000CC34: D1ED00C7 00D26935
	v_cmp_u_f32_e64 s[48:49], v208, v208                       // 00000000CC3C: D0480030 0003A1D0
	v_add3_u32 v46, v208, v49, 1                               // 00000000CC44: D1FF002E 020663D0
	v_cndmask_b32_e64 v52, v46, v48, s[48:49]                  // 00000000CC4C: D1000034 00C2612E
	v_cmp_u_f32_e64 s[48:49], v209, v209                       // 00000000CC54: D0480030 0003A3D1
	v_add3_u32 v46, v209, v49, 1                               // 00000000CC5C: D1FF002E 020663D1
	v_cndmask_b32_e64 v53, v46, v48, s[48:49]                  // 00000000CC64: D1000035 00C2612E
	v_perm_b32 v200, v53, v52, s52                             // 00000000CC6C: D1ED00C8 00D26935
	v_cmp_u_f32_e64 s[48:49], v210, v210                       // 00000000CC74: D0480030 0003A5D2
	v_add3_u32 v46, v210, v49, 1                               // 00000000CC7C: D1FF002E 020663D2
	v_cndmask_b32_e64 v52, v46, v48, s[48:49]                  // 00000000CC84: D1000034 00C2612E
	v_cmp_u_f32_e64 s[48:49], v211, v211                       // 00000000CC8C: D0480030 0003A7D3
	v_add3_u32 v46, v211, v49, 1                               // 00000000CC94: D1FF002E 020663D3
	v_cndmask_b32_e64 v53, v46, v48, s[48:49]                  // 00000000CC9C: D1000035 00C2612E
	v_perm_b32 v201, v53, v52, s52                             // 00000000CCA4: D1ED00C9 00D26935
	v_cmp_u_f32_e64 s[48:49], v212, v212                       // 00000000CCAC: D0480030 0003A9D4
	v_add3_u32 v46, v212, v49, 1                               // 00000000CCB4: D1FF002E 020663D4
	v_cndmask_b32_e64 v52, v46, v48, s[48:49]                  // 00000000CCBC: D1000034 00C2612E
	v_cmp_u_f32_e64 s[48:49], v213, v213                       // 00000000CCC4: D0480030 0003ABD5
	v_add3_u32 v46, v213, v49, 1                               // 00000000CCCC: D1FF002E 020663D5
	v_cndmask_b32_e64 v53, v46, v48, s[48:49]                  // 00000000CCD4: D1000035 00C2612E
	v_perm_b32 v202, v53, v52, s52                             // 00000000CCDC: D1ED00CA 00D26935
	v_cmp_u_f32_e64 s[48:49], v214, v214                       // 00000000CCE4: D0480030 0003ADD6
	v_add3_u32 v46, v214, v49, 1                               // 00000000CCEC: D1FF002E 020663D6
	v_cndmask_b32_e64 v52, v46, v48, s[48:49]                  // 00000000CCF4: D1000034 00C2612E
	v_cmp_u_f32_e64 s[48:49], v215, v215                       // 00000000CCFC: D0480030 0003AFD7
	v_add3_u32 v46, v215, v49, 1                               // 00000000CD04: D1FF002E 020663D7
	v_cndmask_b32_e64 v53, v46, v48, s[48:49]                  // 00000000CD0C: D1000035 00C2612E
	v_perm_b32 v203, v53, v52, s52                             // 00000000CD14: D1ED00CB 00D26935
	v_cmp_u_f32_e64 s[48:49], v216, v216                       // 00000000CD1C: D0480030 0003B1D8
	v_add3_u32 v46, v216, v49, 1                               // 00000000CD24: D1FF002E 020663D8
	v_cndmask_b32_e64 v52, v46, v48, s[48:49]                  // 00000000CD2C: D1000034 00C2612E
	v_cmp_u_f32_e64 s[48:49], v217, v217                       // 00000000CD34: D0480030 0003B3D9
	v_add3_u32 v46, v217, v49, 1                               // 00000000CD3C: D1FF002E 020663D9
	v_cndmask_b32_e64 v53, v46, v48, s[48:49]                  // 00000000CD44: D1000035 00C2612E
	v_perm_b32 v204, v53, v52, s52                             // 00000000CD4C: D1ED00CC 00D26935
	v_cmp_u_f32_e64 s[48:49], v218, v218                       // 00000000CD54: D0480030 0003B5DA
	v_add3_u32 v46, v218, v49, 1                               // 00000000CD5C: D1FF002E 020663DA
	v_cndmask_b32_e64 v52, v46, v48, s[48:49]                  // 00000000CD64: D1000034 00C2612E
	v_cmp_u_f32_e64 s[48:49], v219, v219                       // 00000000CD6C: D0480030 0003B7DB
	v_add3_u32 v46, v219, v49, 1                               // 00000000CD74: D1FF002E 020663DB
	v_cndmask_b32_e64 v53, v46, v48, s[48:49]                  // 00000000CD7C: D1000035 00C2612E
	v_perm_b32 v205, v53, v52, s52                             // 00000000CD84: D1ED00CD 00D26935
	v_cmp_u_f32_e64 s[48:49], v220, v220                       // 00000000CD8C: D0480030 0003B9DC
	v_add3_u32 v46, v220, v49, 1                               // 00000000CD94: D1FF002E 020663DC
	v_cndmask_b32_e64 v52, v46, v48, s[48:49]                  // 00000000CD9C: D1000034 00C2612E
	v_cmp_u_f32_e64 s[48:49], v221, v221                       // 00000000CDA4: D0480030 0003BBDD
	v_add3_u32 v46, v221, v49, 1                               // 00000000CDAC: D1FF002E 020663DD
	v_cndmask_b32_e64 v53, v46, v48, s[48:49]                  // 00000000CDB4: D1000035 00C2612E
	v_perm_b32 v206, v53, v52, s52                             // 00000000CDBC: D1ED00CE 00D26935
	v_cmp_u_f32_e64 s[48:49], v222, v222                       // 00000000CDC4: D0480030 0003BDDE
	v_add3_u32 v46, v222, v49, 1                               // 00000000CDCC: D1FF002E 020663DE
	v_cndmask_b32_e64 v52, v46, v48, s[48:49]                  // 00000000CDD4: D1000034 00C2612E
	v_cmp_u_f32_e64 s[48:49], v223, v223                       // 00000000CDDC: D0480030 0003BFDF
	v_add3_u32 v46, v223, v49, 1                               // 00000000CDE4: D1FF002E 020663DF
	v_cndmask_b32_e64 v53, v46, v48, s[48:49]                  // 00000000CDEC: D1000035 00C2612E
	v_perm_b32 v207, v53, v52, s52                             // 00000000CDF4: D1ED00CF 00D26935
	ds_write_b64 v3, v[192:193] offset:35072                   // 00000000CDFC: D89A8900 0000C003
	ds_write_b64 v3, v[194:195] offset:43776                   // 00000000CE04: D89AAB00 0000C203
	ds_write_b64 v3, v[196:197] offset:37248                   // 00000000CE0C: D89A9180 0000C403
	ds_write_b64 v3, v[198:199] offset:45952                   // 00000000CE14: D89AB380 0000C603
	ds_write_b64 v3, v[200:201] offset:39424                   // 00000000CE1C: D89A9A00 0000C803
	ds_write_b64 v3, v[202:203] offset:48128                   // 00000000CE24: D89ABC00 0000CA03
	ds_write_b64 v3, v[204:205] offset:41600                   // 00000000CE2C: D89AA280 0000CC03
	ds_write_b64 v3, v[206:207] offset:50304                   // 00000000CE34: D89AC480 0000CE03
	s_waitcnt lgkmcnt(0)                                       // 00000000CE3C: BF8CC07F
	s_barrier                                                  // 00000000CE40: BF8A0000
	ds_read_b32 v64, v4 offset:35072                           // 00000000CE44: D86C8900 40000004
	ds_read_b32 v65, v4 offset:39424                           // 00000000CE4C: D86C9A00 41000004
	ds_read_b32 v66, v4 offset:35104                           // 00000000CE54: D86C8920 42000004
	ds_read_b32 v67, v4 offset:39456                           // 00000000CE5C: D86C9A20 43000004
	ds_read_b32 v68, v4 offset:35136                           // 00000000CE64: D86C8940 44000004
	ds_read_b32 v69, v4 offset:39488                           // 00000000CE6C: D86C9A40 45000004
	ds_read_b32 v70, v4 offset:35168                           // 00000000CE74: D86C8960 46000004
	ds_read_b32 v71, v4 offset:39520                           // 00000000CE7C: D86C9A60 47000004
	ds_read_b32 v72, v4 offset:43776                           // 00000000CE84: D86CAB00 48000004
	ds_read_b32 v73, v4 offset:48128                           // 00000000CE8C: D86CBC00 49000004
	ds_read_b32 v74, v4 offset:43808                           // 00000000CE94: D86CAB20 4A000004
	ds_read_b32 v75, v4 offset:48160                           // 00000000CE9C: D86CBC20 4B000004
	ds_read_b32 v76, v4 offset:43840                           // 00000000CEA4: D86CAB40 4C000004
	ds_read_b32 v77, v4 offset:48192                           // 00000000CEAC: D86CBC40 4D000004
	ds_read_b32 v78, v4 offset:43872                           // 00000000CEB4: D86CAB60 4E000004
	ds_read_b32 v79, v4 offset:48224                           // 00000000CEBC: D86CBC60 4F000004
	s_waitcnt lgkmcnt(0)                                       // 00000000CEC4: BF8CC07F
	s_mov_b64 exec, s[20:21]                                   // 00000000CEC8: BEFE0114
	global_atomic_pk_add_bf16 v80, v64, s[8:9]                 // 00000000CECC: DD488000 00084050
	s_mov_b64 exec, s[36:37]                                   // 00000000CED4: BEFE0124
	s_mov_b64 exec, s[20:21]                                   // 00000000CED8: BEFE0114
	global_atomic_pk_add_bf16 v80, v65, s[8:9] offset:256      // 00000000CEDC: DD488100 00084150
	s_mov_b64 exec, s[36:37]                                   // 00000000CEE4: BEFE0124
	s_mov_b64 exec, s[22:23]                                   // 00000000CEE8: BEFE0116
	global_atomic_pk_add_bf16 v82, v66, s[8:9]                 // 00000000CEEC: DD488000 00084252
	s_mov_b64 exec, s[36:37]                                   // 00000000CEF4: BEFE0124
	s_mov_b64 exec, s[22:23]                                   // 00000000CEF8: BEFE0116
	global_atomic_pk_add_bf16 v82, v67, s[8:9] offset:256      // 00000000CEFC: DD488100 00084352
	s_mov_b64 exec, s[36:37]                                   // 00000000CF04: BEFE0124
	s_mov_b64 exec, s[24:25]                                   // 00000000CF08: BEFE0118
	global_atomic_pk_add_bf16 v84, v68, s[8:9]                 // 00000000CF0C: DD488000 00084454
	s_mov_b64 exec, s[36:37]                                   // 00000000CF14: BEFE0124
	s_mov_b64 exec, s[24:25]                                   // 00000000CF18: BEFE0118
	global_atomic_pk_add_bf16 v84, v69, s[8:9] offset:256      // 00000000CF1C: DD488100 00084554
	s_mov_b64 exec, s[36:37]                                   // 00000000CF24: BEFE0124
	s_mov_b64 exec, s[26:27]                                   // 00000000CF28: BEFE011A
	global_atomic_pk_add_bf16 v86, v70, s[8:9]                 // 00000000CF2C: DD488000 00084656
	s_mov_b64 exec, s[36:37]                                   // 00000000CF34: BEFE0124
	s_mov_b64 exec, s[26:27]                                   // 00000000CF38: BEFE011A
	global_atomic_pk_add_bf16 v86, v71, s[8:9] offset:256      // 00000000CF3C: DD488100 00084756
	s_mov_b64 exec, s[36:37]                                   // 00000000CF44: BEFE0124
	s_mov_b64 exec, s[28:29]                                   // 00000000CF48: BEFE011C
	global_atomic_pk_add_bf16 v88, v72, s[8:9]                 // 00000000CF4C: DD488000 00084858
	s_mov_b64 exec, s[36:37]                                   // 00000000CF54: BEFE0124
	s_mov_b64 exec, s[28:29]                                   // 00000000CF58: BEFE011C
	global_atomic_pk_add_bf16 v88, v73, s[8:9] offset:256      // 00000000CF5C: DD488100 00084958
	s_mov_b64 exec, s[36:37]                                   // 00000000CF64: BEFE0124
	s_mov_b64 exec, s[30:31]                                   // 00000000CF68: BEFE011E
	global_atomic_pk_add_bf16 v90, v74, s[8:9]                 // 00000000CF6C: DD488000 00084A5A
	s_mov_b64 exec, s[36:37]                                   // 00000000CF74: BEFE0124
	s_mov_b64 exec, s[30:31]                                   // 00000000CF78: BEFE011E
	global_atomic_pk_add_bf16 v90, v75, s[8:9] offset:256      // 00000000CF7C: DD488100 00084B5A
	s_mov_b64 exec, s[36:37]                                   // 00000000CF84: BEFE0124
	s_mov_b64 exec, s[32:33]                                   // 00000000CF88: BEFE0120
	global_atomic_pk_add_bf16 v92, v76, s[8:9]                 // 00000000CF8C: DD488000 00084C5C
	s_mov_b64 exec, s[36:37]                                   // 00000000CF94: BEFE0124
	s_mov_b64 exec, s[32:33]                                   // 00000000CF98: BEFE0120
	global_atomic_pk_add_bf16 v92, v77, s[8:9] offset:256      // 00000000CF9C: DD488100 00084D5C
	s_mov_b64 exec, s[36:37]                                   // 00000000CFA4: BEFE0124
	s_mov_b64 exec, s[34:35]                                   // 00000000CFA8: BEFE0122
	global_atomic_pk_add_bf16 v94, v78, s[8:9]                 // 00000000CFAC: DD488000 00084E5E
	s_mov_b64 exec, s[36:37]                                   // 00000000CFB4: BEFE0124
	s_mov_b64 exec, s[34:35]                                   // 00000000CFB8: BEFE0122
	global_atomic_pk_add_bf16 v94, v79, s[8:9] offset:256      // 00000000CFBC: DD488100 00084F5E
	s_mov_b64 exec, s[36:37]                                   // 00000000CFC4: BEFE0124
	s_add_u32 s8, s59, s8                                      // 00000000CFC8: 8008083B
	s_addc_u32 s9, 0, s9                                       // 00000000CFCC: 82090980
	s_addk_i32 s80, 0x100                                      // 00000000CFD0: B7500100
	s_cmp_lt_i32 s80, s81                                      // 00000000CFD4: BF045150
	s_cbranch_scc0 label_177A                                  // 00000000CFD8: BF84EF03
	s_waitcnt vmcnt(45)                                        // 00000000CFDC: BF8C8F7D
	s_barrier                                                  // 00000000CFE0: BF8A0000
	v_mfma_i32_16x16x32_i8 v[224:227], a[128:129], v[128:129], 0// 00000000CFE4: D3D700E0 0A030180
	buffer_load_dwordx4 a[0:3], v42, s[12:15], 0 offen         // 00000000CFEC: E05C1000 8083002A
	v_mfma_i32_16x16x32_i8 v[224:227], a[130:131], v[130:131], v[224:227]// 00000000CFF4: D3D700E0 0F830582
	v_mfma_i32_16x16x32_i8 v[228:231], a[128:129], v[160:161], 0// 00000000CFFC: D3D700E4 0A034180
	v_mfma_i32_16x16x32_i8 v[228:231], a[130:131], v[162:163], v[228:231]// 00000000D004: D3D700E4 0F934582
	v_mfma_i32_16x16x32_i8 v[232:235], a[132:133], v[128:129], 0// 00000000D00C: D3D700E8 0A030184
	buffer_load_dwordx4 a[4:7], v43, s[12:15], 0 offen         // 00000000D014: E05C1000 8083042B
	v_mfma_i32_16x16x32_i8 v[232:235], a[134:135], v[130:131], v[232:235]// 00000000D01C: D3D700E8 0FA30586
	v_mfma_i32_16x16x32_i8 v[236:239], a[132:133], v[160:161], 0// 00000000D024: D3D700EC 0A034184
	v_mfma_i32_16x16x32_i8 v[236:239], a[134:135], v[162:163], v[236:239]// 00000000D02C: D3D700EC 0FB34586
	v_mfma_i32_16x16x32_i8 v[240:243], a[136:137], v[128:129], 0// 00000000D034: D3D700F0 0A030188
	buffer_load_dwordx4 a[8:11], v44, s[12:15], 0 offen        // 00000000D03C: E05C1000 8083082C
	v_mfma_i32_16x16x32_i8 v[240:243], a[138:139], v[130:131], v[240:243]// 00000000D044: D3D700F0 0FC3058A
	v_mfma_i32_16x16x32_i8 v[244:247], a[136:137], v[160:161], 0// 00000000D04C: D3D700F4 0A034188
	v_mfma_i32_16x16x32_i8 v[244:247], a[138:139], v[162:163], v[244:247]// 00000000D054: D3D700F4 0FD3458A
	v_mfma_i32_16x16x32_i8 v[248:251], a[140:141], v[128:129], 0// 00000000D05C: D3D700F8 0A03018C
	buffer_load_dwordx4 a[12:15], v45, s[12:15], 0 offen       // 00000000D064: E05C1000 80830C2D
	s_add_u32 s12, s78, s12                                    // 00000000D06C: 800C0C4E
	s_addc_u32 s13, 0, s13                                     // 00000000D070: 820D0D80
	v_mfma_i32_16x16x32_i8 v[248:251], a[142:143], v[130:131], v[248:251]// 00000000D074: D3D700F8 0FE3058E
	v_mfma_i32_16x16x32_i8 v[252:255], a[140:141], v[160:161], 0// 00000000D07C: D3D700FC 0A03418C
	v_mfma_i32_16x16x32_i8 v[252:255], a[142:143], v[162:163], v[252:255]// 00000000D084: D3D700FC 0FF3458E
	s_waitcnt vmcnt(45)                                        // 00000000D08C: BF8C8F7D
	v_mfma_i32_16x16x32_i8 v[224:227], a[144:145], v[132:133], v[224:227]// 00000000D090: D3D700E0 0F830990
	buffer_load_dwordx4 a[16:19], v42, s[12:15], 0 offen       // 00000000D098: E05C1000 8083102A
	v_mfma_i32_16x16x32_i8 v[224:227], a[146:147], v[134:135], v[224:227]// 00000000D0A0: D3D700E0 0F830D92
	v_mfma_i32_16x16x32_i8 v[228:231], a[144:145], v[164:165], v[228:231]// 00000000D0A8: D3D700E4 0F934990
	v_mfma_i32_16x16x32_i8 v[228:231], a[146:147], v[166:167], v[228:231]// 00000000D0B0: D3D700E4 0F934D92
	v_mfma_i32_16x16x32_i8 v[232:235], a[148:149], v[132:133], v[232:235]// 00000000D0B8: D3D700E8 0FA30994
	buffer_load_dwordx4 a[20:23], v43, s[12:15], 0 offen       // 00000000D0C0: E05C1000 8083142B
	v_mfma_i32_16x16x32_i8 v[232:235], a[150:151], v[134:135], v[232:235]// 00000000D0C8: D3D700E8 0FA30D96
	v_mfma_i32_16x16x32_i8 v[236:239], a[148:149], v[164:165], v[236:239]// 00000000D0D0: D3D700EC 0FB34994
	v_mfma_i32_16x16x32_i8 v[236:239], a[150:151], v[166:167], v[236:239]// 00000000D0D8: D3D700EC 0FB34D96
	v_mfma_i32_16x16x32_i8 v[240:243], a[152:153], v[132:133], v[240:243]// 00000000D0E0: D3D700F0 0FC30998
	buffer_load_dwordx4 a[24:27], v44, s[12:15], 0 offen       // 00000000D0E8: E05C1000 8083182C
	v_mfma_i32_16x16x32_i8 v[240:243], a[154:155], v[134:135], v[240:243]// 00000000D0F0: D3D700F0 0FC30D9A
	v_mfma_i32_16x16x32_i8 v[244:247], a[152:153], v[164:165], v[244:247]// 00000000D0F8: D3D700F4 0FD34998
	v_mfma_i32_16x16x32_i8 v[244:247], a[154:155], v[166:167], v[244:247]// 00000000D100: D3D700F4 0FD34D9A
	v_mfma_i32_16x16x32_i8 v[248:251], a[156:157], v[132:133], v[248:251]// 00000000D108: D3D700F8 0FE3099C
	buffer_load_dwordx4 a[28:31], v45, s[12:15], 0 offen       // 00000000D110: E05C1000 80831C2D
	s_add_u32 s12, s78, s12                                    // 00000000D118: 800C0C4E
	s_addc_u32 s13, 0, s13                                     // 00000000D11C: 820D0D80
	v_mfma_i32_16x16x32_i8 v[248:251], a[158:159], v[134:135], v[248:251]// 00000000D120: D3D700F8 0FE30D9E
	v_mfma_i32_16x16x32_i8 v[252:255], a[156:157], v[164:165], v[252:255]// 00000000D128: D3D700FC 0FF3499C
	v_mfma_i32_16x16x32_i8 v[252:255], a[158:159], v[166:167], v[252:255]// 00000000D130: D3D700FC 0FF34D9E
	s_waitcnt vmcnt(45)                                        // 00000000D138: BF8C8F7D
	v_mfma_i32_16x16x32_i8 v[224:227], a[160:161], v[136:137], v[224:227]// 00000000D13C: D3D700E0 0F8311A0
	buffer_load_dwordx4 a[32:35], v42, s[12:15], 0 offen       // 00000000D144: E05C1000 8083202A
	v_mfma_i32_16x16x32_i8 v[224:227], a[162:163], v[138:139], v[224:227]// 00000000D14C: D3D700E0 0F8315A2
	v_mfma_i32_16x16x32_i8 v[228:231], a[160:161], v[168:169], v[228:231]// 00000000D154: D3D700E4 0F9351A0
	v_mfma_i32_16x16x32_i8 v[228:231], a[162:163], v[170:171], v[228:231]// 00000000D15C: D3D700E4 0F9355A2
	v_mfma_i32_16x16x32_i8 v[232:235], a[164:165], v[136:137], v[232:235]// 00000000D164: D3D700E8 0FA311A4
	buffer_load_dwordx4 a[36:39], v43, s[12:15], 0 offen       // 00000000D16C: E05C1000 8083242B
	v_mfma_i32_16x16x32_i8 v[232:235], a[166:167], v[138:139], v[232:235]// 00000000D174: D3D700E8 0FA315A6
	v_mfma_i32_16x16x32_i8 v[236:239], a[164:165], v[168:169], v[236:239]// 00000000D17C: D3D700EC 0FB351A4
	v_mfma_i32_16x16x32_i8 v[236:239], a[166:167], v[170:171], v[236:239]// 00000000D184: D3D700EC 0FB355A6
	v_mfma_i32_16x16x32_i8 v[240:243], a[168:169], v[136:137], v[240:243]// 00000000D18C: D3D700F0 0FC311A8
	buffer_load_dwordx4 a[40:43], v44, s[12:15], 0 offen       // 00000000D194: E05C1000 8083282C
	v_mfma_i32_16x16x32_i8 v[240:243], a[170:171], v[138:139], v[240:243]// 00000000D19C: D3D700F0 0FC315AA
	v_mfma_i32_16x16x32_i8 v[244:247], a[168:169], v[168:169], v[244:247]// 00000000D1A4: D3D700F4 0FD351A8
	v_mfma_i32_16x16x32_i8 v[244:247], a[170:171], v[170:171], v[244:247]// 00000000D1AC: D3D700F4 0FD355AA
	v_mfma_i32_16x16x32_i8 v[248:251], a[172:173], v[136:137], v[248:251]// 00000000D1B4: D3D700F8 0FE311AC
	buffer_load_dwordx4 a[44:47], v45, s[12:15], 0 offen       // 00000000D1BC: E05C1000 80832C2D
	s_add_u32 s12, s78, s12                                    // 00000000D1C4: 800C0C4E
	s_addc_u32 s13, 0, s13                                     // 00000000D1C8: 820D0D80
	v_mfma_i32_16x16x32_i8 v[248:251], a[174:175], v[138:139], v[248:251]// 00000000D1CC: D3D700F8 0FE315AE
	v_mfma_i32_16x16x32_i8 v[252:255], a[172:173], v[168:169], v[252:255]// 00000000D1D4: D3D700FC 0FF351AC
	v_mfma_i32_16x16x32_i8 v[252:255], a[174:175], v[170:171], v[252:255]// 00000000D1DC: D3D700FC 0FF355AE
	s_waitcnt vmcnt(45)                                        // 00000000D1E4: BF8C8F7D
	v_mfma_i32_16x16x32_i8 v[224:227], a[176:177], v[140:141], v[224:227]// 00000000D1E8: D3D700E0 0F8319B0
	buffer_load_dwordx4 a[48:51], v42, s[12:15], 0 offen       // 00000000D1F0: E05C1000 8083302A
	v_mfma_i32_16x16x32_i8 v[224:227], a[178:179], v[142:143], v[224:227]// 00000000D1F8: D3D700E0 0F831DB2
	v_mfma_i32_16x16x32_i8 v[228:231], a[176:177], v[172:173], v[228:231]// 00000000D200: D3D700E4 0F9359B0
	v_mfma_i32_16x16x32_i8 v[228:231], a[178:179], v[174:175], v[228:231]// 00000000D208: D3D700E4 0F935DB2
	v_mfma_i32_16x16x32_i8 v[232:235], a[180:181], v[140:141], v[232:235]// 00000000D210: D3D700E8 0FA319B4
	buffer_load_dwordx4 a[52:55], v43, s[12:15], 0 offen       // 00000000D218: E05C1000 8083342B
	v_mfma_i32_16x16x32_i8 v[232:235], a[182:183], v[142:143], v[232:235]// 00000000D220: D3D700E8 0FA31DB6
	v_mfma_i32_16x16x32_i8 v[236:239], a[180:181], v[172:173], v[236:239]// 00000000D228: D3D700EC 0FB359B4
	v_mfma_i32_16x16x32_i8 v[236:239], a[182:183], v[174:175], v[236:239]// 00000000D230: D3D700EC 0FB35DB6
	v_mfma_i32_16x16x32_i8 v[240:243], a[184:185], v[140:141], v[240:243]// 00000000D238: D3D700F0 0FC319B8
	buffer_load_dwordx4 a[56:59], v44, s[12:15], 0 offen       // 00000000D240: E05C1000 8083382C
	v_mfma_i32_16x16x32_i8 v[240:243], a[186:187], v[142:143], v[240:243]// 00000000D248: D3D700F0 0FC31DBA
	v_mfma_i32_16x16x32_i8 v[244:247], a[184:185], v[172:173], v[244:247]// 00000000D250: D3D700F4 0FD359B8
	v_mfma_i32_16x16x32_i8 v[244:247], a[186:187], v[174:175], v[244:247]// 00000000D258: D3D700F4 0FD35DBA
	v_mfma_i32_16x16x32_i8 v[248:251], a[188:189], v[140:141], v[248:251]// 00000000D260: D3D700F8 0FE319BC
	buffer_load_dwordx4 a[60:63], v45, s[12:15], 0 offen       // 00000000D268: E05C1000 80833C2D
	s_add_u32 s12, s78, s12                                    // 00000000D270: 800C0C4E
	s_addc_u32 s13, 0, s13                                     // 00000000D274: 820D0D80
	v_mfma_i32_16x16x32_i8 v[248:251], a[190:191], v[142:143], v[248:251]// 00000000D278: D3D700F8 0FE31DBE
	v_mfma_i32_16x16x32_i8 v[252:255], a[188:189], v[172:173], v[252:255]// 00000000D280: D3D700FC 0FF359BC
	v_mfma_i32_16x16x32_i8 v[252:255], a[190:191], v[174:175], v[252:255]// 00000000D288: D3D700FC 0FF35DBE
	s_waitcnt vmcnt(45)                                        // 00000000D290: BF8C8F7D
	v_mfma_i32_16x16x32_i8 v[224:227], a[192:193], v[144:145], v[224:227]// 00000000D294: D3D700E0 0F8321C0
	buffer_load_dwordx4 a[64:67], v42, s[12:15], 0 offen       // 00000000D29C: E05C1000 8083402A
	v_mfma_i32_16x16x32_i8 v[224:227], a[194:195], v[146:147], v[224:227]// 00000000D2A4: D3D700E0 0F8325C2
	v_mfma_i32_16x16x32_i8 v[228:231], a[192:193], v[176:177], v[228:231]// 00000000D2AC: D3D700E4 0F9361C0
	v_mfma_i32_16x16x32_i8 v[228:231], a[194:195], v[178:179], v[228:231]// 00000000D2B4: D3D700E4 0F9365C2
	v_mfma_i32_16x16x32_i8 v[232:235], a[196:197], v[144:145], v[232:235]// 00000000D2BC: D3D700E8 0FA321C4
	buffer_load_dwordx4 a[68:71], v43, s[12:15], 0 offen       // 00000000D2C4: E05C1000 8083442B
	v_mfma_i32_16x16x32_i8 v[232:235], a[198:199], v[146:147], v[232:235]// 00000000D2CC: D3D700E8 0FA325C6
	v_mfma_i32_16x16x32_i8 v[236:239], a[196:197], v[176:177], v[236:239]// 00000000D2D4: D3D700EC 0FB361C4
	v_mfma_i32_16x16x32_i8 v[236:239], a[198:199], v[178:179], v[236:239]// 00000000D2DC: D3D700EC 0FB365C6
	v_mfma_i32_16x16x32_i8 v[240:243], a[200:201], v[144:145], v[240:243]// 00000000D2E4: D3D700F0 0FC321C8
	buffer_load_dwordx4 a[72:75], v44, s[12:15], 0 offen       // 00000000D2EC: E05C1000 8083482C
	v_mfma_i32_16x16x32_i8 v[240:243], a[202:203], v[146:147], v[240:243]// 00000000D2F4: D3D700F0 0FC325CA
	v_mfma_i32_16x16x32_i8 v[244:247], a[200:201], v[176:177], v[244:247]// 00000000D2FC: D3D700F4 0FD361C8
	v_mfma_i32_16x16x32_i8 v[244:247], a[202:203], v[178:179], v[244:247]// 00000000D304: D3D700F4 0FD365CA
	v_mfma_i32_16x16x32_i8 v[248:251], a[204:205], v[144:145], v[248:251]// 00000000D30C: D3D700F8 0FE321CC
	buffer_load_dwordx4 a[76:79], v45, s[12:15], 0 offen       // 00000000D314: E05C1000 80834C2D
	s_add_u32 s12, s78, s12                                    // 00000000D31C: 800C0C4E
	s_addc_u32 s13, 0, s13                                     // 00000000D320: 820D0D80
	v_mfma_i32_16x16x32_i8 v[248:251], a[206:207], v[146:147], v[248:251]// 00000000D324: D3D700F8 0FE325CE
	v_mfma_i32_16x16x32_i8 v[252:255], a[204:205], v[176:177], v[252:255]// 00000000D32C: D3D700FC 0FF361CC
	v_mfma_i32_16x16x32_i8 v[252:255], a[206:207], v[178:179], v[252:255]// 00000000D334: D3D700FC 0FF365CE
	s_waitcnt vmcnt(45)                                        // 00000000D33C: BF8C8F7D
	v_mfma_i32_16x16x32_i8 v[224:227], a[208:209], v[148:149], v[224:227]// 00000000D340: D3D700E0 0F8329D0
	buffer_load_dwordx4 a[80:83], v42, s[12:15], 0 offen       // 00000000D348: E05C1000 8083502A
	v_mfma_i32_16x16x32_i8 v[224:227], a[210:211], v[150:151], v[224:227]// 00000000D350: D3D700E0 0F832DD2
	v_mfma_i32_16x16x32_i8 v[228:231], a[208:209], v[180:181], v[228:231]// 00000000D358: D3D700E4 0F9369D0
	v_mfma_i32_16x16x32_i8 v[228:231], a[210:211], v[182:183], v[228:231]// 00000000D360: D3D700E4 0F936DD2
	v_mfma_i32_16x16x32_i8 v[232:235], a[212:213], v[148:149], v[232:235]// 00000000D368: D3D700E8 0FA329D4
	buffer_load_dwordx4 a[84:87], v43, s[12:15], 0 offen       // 00000000D370: E05C1000 8083542B
	v_mfma_i32_16x16x32_i8 v[232:235], a[214:215], v[150:151], v[232:235]// 00000000D378: D3D700E8 0FA32DD6
	v_mfma_i32_16x16x32_i8 v[236:239], a[212:213], v[180:181], v[236:239]// 00000000D380: D3D700EC 0FB369D4
	v_mfma_i32_16x16x32_i8 v[236:239], a[214:215], v[182:183], v[236:239]// 00000000D388: D3D700EC 0FB36DD6
	v_mfma_i32_16x16x32_i8 v[240:243], a[216:217], v[148:149], v[240:243]// 00000000D390: D3D700F0 0FC329D8
	buffer_load_dwordx4 a[88:91], v44, s[12:15], 0 offen       // 00000000D398: E05C1000 8083582C
	v_mfma_i32_16x16x32_i8 v[240:243], a[218:219], v[150:151], v[240:243]// 00000000D3A0: D3D700F0 0FC32DDA
	v_mfma_i32_16x16x32_i8 v[244:247], a[216:217], v[180:181], v[244:247]// 00000000D3A8: D3D700F4 0FD369D8
	v_mfma_i32_16x16x32_i8 v[244:247], a[218:219], v[182:183], v[244:247]// 00000000D3B0: D3D700F4 0FD36DDA
	v_mfma_i32_16x16x32_i8 v[248:251], a[220:221], v[148:149], v[248:251]// 00000000D3B8: D3D700F8 0FE329DC
	buffer_load_dwordx4 a[92:95], v45, s[12:15], 0 offen       // 00000000D3C0: E05C1000 80835C2D
	s_add_u32 s12, s78, s12                                    // 00000000D3C8: 800C0C4E
	s_addc_u32 s13, 0, s13                                     // 00000000D3CC: 820D0D80
	v_mfma_i32_16x16x32_i8 v[248:251], a[222:223], v[150:151], v[248:251]// 00000000D3D0: D3D700F8 0FE32DDE
	v_mfma_i32_16x16x32_i8 v[252:255], a[220:221], v[180:181], v[252:255]// 00000000D3D8: D3D700FC 0FF369DC
	v_mfma_i32_16x16x32_i8 v[252:255], a[222:223], v[182:183], v[252:255]// 00000000D3E0: D3D700FC 0FF36DDE
	s_waitcnt vmcnt(45)                                        // 00000000D3E8: BF8C8F7D
	v_mfma_i32_16x16x32_i8 v[224:227], a[224:225], v[152:153], v[224:227]// 00000000D3EC: D3D700E0 0F8331E0
	buffer_load_dwordx4 a[96:99], v42, s[12:15], 0 offen       // 00000000D3F4: E05C1000 8083602A
	v_mfma_i32_16x16x32_i8 v[224:227], a[226:227], v[154:155], v[224:227]// 00000000D3FC: D3D700E0 0F8335E2
	v_mfma_i32_16x16x32_i8 v[228:231], a[224:225], v[184:185], v[228:231]// 00000000D404: D3D700E4 0F9371E0
	v_mfma_i32_16x16x32_i8 v[228:231], a[226:227], v[186:187], v[228:231]// 00000000D40C: D3D700E4 0F9375E2
	v_mfma_i32_16x16x32_i8 v[232:235], a[228:229], v[152:153], v[232:235]// 00000000D414: D3D700E8 0FA331E4
	buffer_load_dwordx4 a[100:103], v43, s[12:15], 0 offen     // 00000000D41C: E05C1000 8083642B
	v_mfma_i32_16x16x32_i8 v[232:235], a[230:231], v[154:155], v[232:235]// 00000000D424: D3D700E8 0FA335E6
	v_mfma_i32_16x16x32_i8 v[236:239], a[228:229], v[184:185], v[236:239]// 00000000D42C: D3D700EC 0FB371E4
	v_mfma_i32_16x16x32_i8 v[236:239], a[230:231], v[186:187], v[236:239]// 00000000D434: D3D700EC 0FB375E6
	v_mfma_i32_16x16x32_i8 v[240:243], a[232:233], v[152:153], v[240:243]// 00000000D43C: D3D700F0 0FC331E8
	buffer_load_dwordx4 a[104:107], v44, s[12:15], 0 offen     // 00000000D444: E05C1000 8083682C
	v_mfma_i32_16x16x32_i8 v[240:243], a[234:235], v[154:155], v[240:243]// 00000000D44C: D3D700F0 0FC335EA
	v_mfma_i32_16x16x32_i8 v[244:247], a[232:233], v[184:185], v[244:247]// 00000000D454: D3D700F4 0FD371E8
	v_mfma_i32_16x16x32_i8 v[244:247], a[234:235], v[186:187], v[244:247]// 00000000D45C: D3D700F4 0FD375EA
	v_mfma_i32_16x16x32_i8 v[248:251], a[236:237], v[152:153], v[248:251]// 00000000D464: D3D700F8 0FE331EC
	buffer_load_dwordx4 a[108:111], v45, s[12:15], 0 offen     // 00000000D46C: E05C1000 80836C2D
	s_add_u32 s12, s78, s12                                    // 00000000D474: 800C0C4E
	s_addc_u32 s13, 0, s13                                     // 00000000D478: 820D0D80
	v_mfma_i32_16x16x32_i8 v[248:251], a[238:239], v[154:155], v[248:251]// 00000000D47C: D3D700F8 0FE335EE
	v_mfma_i32_16x16x32_i8 v[252:255], a[236:237], v[184:185], v[252:255]// 00000000D484: D3D700FC 0FF371EC
	v_mfma_i32_16x16x32_i8 v[252:255], a[238:239], v[186:187], v[252:255]// 00000000D48C: D3D700FC 0FF375EE
	s_waitcnt vmcnt(44)                                        // 00000000D494: BF8C8F7C
	v_mfma_i32_16x16x32_i8 v[224:227], a[240:241], v[156:157], v[224:227]// 00000000D498: D3D700E0 0F8339F0
	buffer_load_dwordx4 a[112:115], v42, s[12:15], 0 offen     // 00000000D4A0: E05C1000 8083702A
	v_mfma_i32_16x16x32_i8 v[224:227], a[242:243], v[158:159], v[224:227]// 00000000D4A8: D3D700E0 0F833DF2
	v_mfma_i32_16x16x32_i8 v[228:231], a[240:241], v[188:189], v[228:231]// 00000000D4B0: D3D700E4 0F9379F0
	buffer_load_dword v12, v5, s[16:19], 0 offen               // 00000000D4B8: E0501000 80040C05
	v_mfma_i32_16x16x32_i8 v[228:231], a[242:243], v[190:191], v[228:231]// 00000000D4C0: D3D700E4 0F937DF2
	v_mfma_i32_16x16x32_i8 v[232:235], a[244:245], v[156:157], v[232:235]// 00000000D4C8: D3D700E8 0FA339F4
	buffer_load_dwordx4 a[116:119], v43, s[12:15], 0 offen     // 00000000D4D0: E05C1000 8083742B
	v_mfma_i32_16x16x32_i8 v[232:235], a[246:247], v[158:159], v[232:235]// 00000000D4D8: D3D700E8 0FA33DF6
	v_mfma_i32_16x16x32_i8 v[236:239], a[244:245], v[188:189], v[236:239]// 00000000D4E0: D3D700EC 0FB379F4
	v_mfma_i32_16x16x32_i8 v[236:239], a[246:247], v[190:191], v[236:239]// 00000000D4E8: D3D700EC 0FB37DF6
	v_mfma_i32_16x16x32_i8 v[240:243], a[248:249], v[156:157], v[240:243]// 00000000D4F0: D3D700F0 0FC339F8
	buffer_load_dwordx4 a[120:123], v44, s[12:15], 0 offen     // 00000000D4F8: E05C1000 8083782C
	v_mfma_i32_16x16x32_i8 v[240:243], a[250:251], v[158:159], v[240:243]// 00000000D500: D3D700F0 0FC33DFA
	v_mfma_i32_16x16x32_i8 v[244:247], a[248:249], v[188:189], v[244:247]// 00000000D508: D3D700F4 0FD379F8
	v_mfma_i32_16x16x32_i8 v[244:247], a[250:251], v[190:191], v[244:247]// 00000000D510: D3D700F4 0FD37DFA
	v_mfma_i32_16x16x32_i8 v[248:251], a[252:253], v[156:157], v[248:251]// 00000000D518: D3D700F8 0FE339FC
	buffer_load_dwordx4 a[124:127], v45, s[12:15], 0 offen     // 00000000D520: E05C1000 80837C2D
	v_mfma_i32_16x16x32_i8 v[248:251], a[254:255], v[158:159], v[248:251]// 00000000D528: D3D700F8 0FE33DFE
	v_mfma_i32_16x16x32_i8 v[252:255], a[252:253], v[188:189], v[252:255]// 00000000D530: D3D700FC 0FF379FC
	v_mfma_i32_16x16x32_i8 v[252:255], a[254:255], v[190:191], v[252:255]// 00000000D538: D3D700FC 0FF37DFE
	s_add_u32 s60, 0x200, s80                                  // 00000000D540: 803C50FF 00000200
	s_cmp_lt_u32 s60, s81                                      // 00000000D548: BF0A513C
	s_cselect_b32 s56, s56, 0                                  // 00000000D54C: 85388038
	s_cselect_b32 s78, s78, 0                                  // 00000000D550: 854E804E
	s_cselect_b32 s79, s79, 0                                  // 00000000D554: 854F804F
	s_add_u32 s12, s56, s12                                    // 00000000D558: 800C0C38
	s_addc_u32 s13, 0, s13                                     // 00000000D55C: 820D0D80
	s_add_u32 s16, s79, s16                                    // 00000000D560: 8010104F
	s_addc_u32 s17, 0, s17                                     // 00000000D564: 82111180
	v_cvt_f32_i32_e32 v224, v224                               // 00000000D568: 7FC00BE0
	v_cvt_f32_i32_e32 v225, v225                               // 00000000D56C: 7FC20BE1
	v_cvt_f32_i32_e32 v226, v226                               // 00000000D570: 7FC40BE2
	v_cvt_f32_i32_e32 v227, v227                               // 00000000D574: 7FC60BE3
	v_mul_f32_e32 v224, v24, v224                              // 00000000D578: 0BC1C118
	v_mul_f32_e32 v225, v24, v225                              // 00000000D57C: 0BC3C318
	v_mul_f32_e32 v226, v24, v226                              // 00000000D580: 0BC5C518
	v_mul_f32_e32 v227, v24, v227                              // 00000000D584: 0BC7C718
	v_mul_f32_dpp v224, v13, v224 row_newbcast:0 row_mask:0xf bank_mask:0xf// 00000000D588: 0BC1C0FA FF01500D
	v_mul_f32_dpp v225, v13, v225 row_newbcast:1 row_mask:0xf bank_mask:0xf// 00000000D590: 0BC3C2FA FF01510D
	v_mul_f32_dpp v226, v13, v226 row_newbcast:2 row_mask:0xf bank_mask:0xf// 00000000D598: 0BC5C4FA FF01520D
	v_mul_f32_dpp v227, v13, v227 row_newbcast:3 row_mask:0xf bank_mask:0xf// 00000000D5A0: 0BC7C6FA FF01530D
	v_mul_f32_e32 v224, v20, v224                              // 00000000D5A8: 0BC1C114
	v_mul_f32_e32 v225, v20, v225                              // 00000000D5AC: 0BC3C314
	v_mul_f32_e32 v226, v20, v226                              // 00000000D5B0: 0BC5C514
	v_mul_f32_e32 v227, v20, v227                              // 00000000D5B4: 0BC7C714
	v_cvt_f32_i32_e32 v228, v228                               // 00000000D5B8: 7FC80BE4
	v_cvt_f32_i32_e32 v229, v229                               // 00000000D5BC: 7FCA0BE5
	v_cvt_f32_i32_e32 v230, v230                               // 00000000D5C0: 7FCC0BE6
	v_cvt_f32_i32_e32 v231, v231                               // 00000000D5C4: 7FCE0BE7
	v_mul_f32_e32 v228, v25, v228                              // 00000000D5C8: 0BC9C919
	v_mul_f32_e32 v229, v25, v229                              // 00000000D5CC: 0BCBCB19
	v_mul_f32_e32 v230, v25, v230                              // 00000000D5D0: 0BCDCD19
	v_mul_f32_e32 v231, v25, v231                              // 00000000D5D4: 0BCFCF19
	v_mul_f32_dpp v228, v13, v228 row_newbcast:0 row_mask:0xf bank_mask:0xf// 00000000D5D8: 0BC9C8FA FF01500D
	v_mul_f32_dpp v229, v13, v229 row_newbcast:1 row_mask:0xf bank_mask:0xf// 00000000D5E0: 0BCBCAFA FF01510D
	v_mul_f32_dpp v230, v13, v230 row_newbcast:2 row_mask:0xf bank_mask:0xf// 00000000D5E8: 0BCDCCFA FF01520D
	v_mul_f32_dpp v231, v13, v231 row_newbcast:3 row_mask:0xf bank_mask:0xf// 00000000D5F0: 0BCFCEFA FF01530D
	v_mul_f32_e32 v228, v21, v228                              // 00000000D5F8: 0BC9C915
	v_mul_f32_e32 v229, v21, v229                              // 00000000D5FC: 0BCBCB15
	v_mul_f32_e32 v230, v21, v230                              // 00000000D600: 0BCDCD15
	v_mul_f32_e32 v231, v21, v231                              // 00000000D604: 0BCFCF15
	v_cvt_f32_i32_e32 v232, v232                               // 00000000D608: 7FD00BE8
	v_cvt_f32_i32_e32 v233, v233                               // 00000000D60C: 7FD20BE9
	v_cvt_f32_i32_e32 v234, v234                               // 00000000D610: 7FD40BEA
	v_cvt_f32_i32_e32 v235, v235                               // 00000000D614: 7FD60BEB
	v_mul_f32_e32 v232, v24, v232                              // 00000000D618: 0BD1D118
	v_mul_f32_e32 v233, v24, v233                              // 00000000D61C: 0BD3D318
	v_mul_f32_e32 v234, v24, v234                              // 00000000D620: 0BD5D518
	v_mul_f32_e32 v235, v24, v235                              // 00000000D624: 0BD7D718
	v_mul_f32_dpp v232, v13, v232 row_newbcast:4 row_mask:0xf bank_mask:0xf// 00000000D628: 0BD1D0FA FF01540D
	v_mul_f32_dpp v233, v13, v233 row_newbcast:5 row_mask:0xf bank_mask:0xf// 00000000D630: 0BD3D2FA FF01550D
	v_mul_f32_dpp v234, v13, v234 row_newbcast:6 row_mask:0xf bank_mask:0xf// 00000000D638: 0BD5D4FA FF01560D
	v_mul_f32_dpp v235, v13, v235 row_newbcast:7 row_mask:0xf bank_mask:0xf// 00000000D640: 0BD7D6FA FF01570D
	v_mul_f32_e32 v232, v20, v232                              // 00000000D648: 0BD1D114
	v_mul_f32_e32 v233, v20, v233                              // 00000000D64C: 0BD3D314
	v_mul_f32_e32 v234, v20, v234                              // 00000000D650: 0BD5D514
	v_mul_f32_e32 v235, v20, v235                              // 00000000D654: 0BD7D714
	v_cvt_f32_i32_e32 v236, v236                               // 00000000D658: 7FD80BEC
	v_cvt_f32_i32_e32 v237, v237                               // 00000000D65C: 7FDA0BED
	v_cvt_f32_i32_e32 v238, v238                               // 00000000D660: 7FDC0BEE
	v_cvt_f32_i32_e32 v239, v239                               // 00000000D664: 7FDE0BEF
	v_mul_f32_e32 v236, v25, v236                              // 00000000D668: 0BD9D919
	v_mul_f32_e32 v237, v25, v237                              // 00000000D66C: 0BDBDB19
	v_mul_f32_e32 v238, v25, v238                              // 00000000D670: 0BDDDD19
	v_mul_f32_e32 v239, v25, v239                              // 00000000D674: 0BDFDF19
	v_mul_f32_dpp v236, v13, v236 row_newbcast:4 row_mask:0xf bank_mask:0xf// 00000000D678: 0BD9D8FA FF01540D
	v_mul_f32_dpp v237, v13, v237 row_newbcast:5 row_mask:0xf bank_mask:0xf// 00000000D680: 0BDBDAFA FF01550D
	v_mul_f32_dpp v238, v13, v238 row_newbcast:6 row_mask:0xf bank_mask:0xf// 00000000D688: 0BDDDCFA FF01560D
	v_mul_f32_dpp v239, v13, v239 row_newbcast:7 row_mask:0xf bank_mask:0xf// 00000000D690: 0BDFDEFA FF01570D
	v_mul_f32_e32 v236, v21, v236                              // 00000000D698: 0BD9D915
	v_mul_f32_e32 v237, v21, v237                              // 00000000D69C: 0BDBDB15
	v_mul_f32_e32 v238, v21, v238                              // 00000000D6A0: 0BDDDD15
	v_mul_f32_e32 v239, v21, v239                              // 00000000D6A4: 0BDFDF15
	v_cvt_f32_i32_e32 v240, v240                               // 00000000D6A8: 7FE00BF0
	v_cvt_f32_i32_e32 v241, v241                               // 00000000D6AC: 7FE20BF1
	v_cvt_f32_i32_e32 v242, v242                               // 00000000D6B0: 7FE40BF2
	v_cvt_f32_i32_e32 v243, v243                               // 00000000D6B4: 7FE60BF3
	v_mul_f32_e32 v240, v24, v240                              // 00000000D6B8: 0BE1E118
	v_mul_f32_e32 v241, v24, v241                              // 00000000D6BC: 0BE3E318
	v_mul_f32_e32 v242, v24, v242                              // 00000000D6C0: 0BE5E518
	v_mul_f32_e32 v243, v24, v243                              // 00000000D6C4: 0BE7E718
	v_mul_f32_dpp v240, v13, v240 row_newbcast:8 row_mask:0xf bank_mask:0xf// 00000000D6C8: 0BE1E0FA FF01580D
	v_mul_f32_dpp v241, v13, v241 row_newbcast:9 row_mask:0xf bank_mask:0xf// 00000000D6D0: 0BE3E2FA FF01590D
	v_mul_f32_dpp v242, v13, v242 row_newbcast:10 row_mask:0xf bank_mask:0xf// 00000000D6D8: 0BE5E4FA FF015A0D
	v_mul_f32_dpp v243, v13, v243 row_newbcast:11 row_mask:0xf bank_mask:0xf// 00000000D6E0: 0BE7E6FA FF015B0D
	v_mul_f32_e32 v240, v20, v240                              // 00000000D6E8: 0BE1E114
	v_mul_f32_e32 v241, v20, v241                              // 00000000D6EC: 0BE3E314
	v_mul_f32_e32 v242, v20, v242                              // 00000000D6F0: 0BE5E514
	v_mul_f32_e32 v243, v20, v243                              // 00000000D6F4: 0BE7E714
	v_cvt_f32_i32_e32 v244, v244                               // 00000000D6F8: 7FE80BF4
	v_cvt_f32_i32_e32 v245, v245                               // 00000000D6FC: 7FEA0BF5
	v_cvt_f32_i32_e32 v246, v246                               // 00000000D700: 7FEC0BF6
	v_cvt_f32_i32_e32 v247, v247                               // 00000000D704: 7FEE0BF7
	v_mul_f32_e32 v244, v25, v244                              // 00000000D708: 0BE9E919
	v_mul_f32_e32 v245, v25, v245                              // 00000000D70C: 0BEBEB19
	v_mul_f32_e32 v246, v25, v246                              // 00000000D710: 0BEDED19
	v_mul_f32_e32 v247, v25, v247                              // 00000000D714: 0BEFEF19
	v_mul_f32_dpp v244, v13, v244 row_newbcast:8 row_mask:0xf bank_mask:0xf// 00000000D718: 0BE9E8FA FF01580D
	v_mul_f32_dpp v245, v13, v245 row_newbcast:9 row_mask:0xf bank_mask:0xf// 00000000D720: 0BEBEAFA FF01590D
	v_mul_f32_dpp v246, v13, v246 row_newbcast:10 row_mask:0xf bank_mask:0xf// 00000000D728: 0BEDECFA FF015A0D
	v_mul_f32_dpp v247, v13, v247 row_newbcast:11 row_mask:0xf bank_mask:0xf// 00000000D730: 0BEFEEFA FF015B0D
	v_mul_f32_e32 v244, v21, v244                              // 00000000D738: 0BE9E915
	v_mul_f32_e32 v245, v21, v245                              // 00000000D73C: 0BEBEB15
	v_mul_f32_e32 v246, v21, v246                              // 00000000D740: 0BEDED15
	v_mul_f32_e32 v247, v21, v247                              // 00000000D744: 0BEFEF15
	v_cvt_f32_i32_e32 v248, v248                               // 00000000D748: 7FF00BF8
	v_cvt_f32_i32_e32 v249, v249                               // 00000000D74C: 7FF20BF9
	v_cvt_f32_i32_e32 v250, v250                               // 00000000D750: 7FF40BFA
	v_cvt_f32_i32_e32 v251, v251                               // 00000000D754: 7FF60BFB
	v_mul_f32_e32 v248, v24, v248                              // 00000000D758: 0BF1F118
	v_mul_f32_e32 v249, v24, v249                              // 00000000D75C: 0BF3F318
	v_mul_f32_e32 v250, v24, v250                              // 00000000D760: 0BF5F518
	v_mul_f32_e32 v251, v24, v251                              // 00000000D764: 0BF7F718
	v_mul_f32_dpp v248, v13, v248 row_newbcast:12 row_mask:0xf bank_mask:0xf// 00000000D768: 0BF1F0FA FF015C0D
	v_mul_f32_dpp v249, v13, v249 row_newbcast:13 row_mask:0xf bank_mask:0xf// 00000000D770: 0BF3F2FA FF015D0D
	v_mul_f32_dpp v250, v13, v250 row_newbcast:14 row_mask:0xf bank_mask:0xf// 00000000D778: 0BF5F4FA FF015E0D
	v_mul_f32_dpp v251, v13, v251 row_newbcast:15 row_mask:0xf bank_mask:0xf// 00000000D780: 0BF7F6FA FF015F0D
	v_mul_f32_e32 v248, v20, v248                              // 00000000D788: 0BF1F114
	v_mul_f32_e32 v249, v20, v249                              // 00000000D78C: 0BF3F314
	v_mul_f32_e32 v250, v20, v250                              // 00000000D790: 0BF5F514
	v_mul_f32_e32 v251, v20, v251                              // 00000000D794: 0BF7F714
	v_cvt_f32_i32_e32 v252, v252                               // 00000000D798: 7FF80BFC
	v_cvt_f32_i32_e32 v253, v253                               // 00000000D79C: 7FFA0BFD
	v_cvt_f32_i32_e32 v254, v254                               // 00000000D7A0: 7FFC0BFE
	v_cvt_f32_i32_e32 v255, v255                               // 00000000D7A4: 7FFE0BFF
	v_mul_f32_e32 v252, v25, v252                              // 00000000D7A8: 0BF9F919
	v_mul_f32_e32 v253, v25, v253                              // 00000000D7AC: 0BFBFB19
	v_mul_f32_e32 v254, v25, v254                              // 00000000D7B0: 0BFDFD19
	v_mul_f32_e32 v255, v25, v255                              // 00000000D7B4: 0BFFFF19
	v_mul_f32_dpp v252, v13, v252 row_newbcast:12 row_mask:0xf bank_mask:0xf// 00000000D7B8: 0BF9F8FA FF015C0D
	v_mul_f32_dpp v253, v13, v253 row_newbcast:13 row_mask:0xf bank_mask:0xf// 00000000D7C0: 0BFBFAFA FF015D0D
	v_mul_f32_dpp v254, v13, v254 row_newbcast:14 row_mask:0xf bank_mask:0xf// 00000000D7C8: 0BFDFCFA FF015E0D
	v_mul_f32_dpp v255, v13, v255 row_newbcast:15 row_mask:0xf bank_mask:0xf// 00000000D7D0: 0BFFFEFA FF015F0D
	v_mul_f32_e32 v252, v21, v252                              // 00000000D7D8: 0BF9F915
	v_mul_f32_e32 v253, v21, v253                              // 00000000D7DC: 0BFBFB15
	v_mul_f32_e32 v254, v21, v254                              // 00000000D7E0: 0BFDFD15
	v_mul_f32_e32 v255, v21, v255                              // 00000000D7E4: 0BFFFF15
	v_cmp_u_f32_e64 s[48:49], v224, v224                       // 00000000D7E8: D0480030 0003C1E0
	v_add3_u32 v46, v224, v49, 1                               // 00000000D7F0: D1FF002E 020663E0
	v_cndmask_b32_e64 v52, v46, v48, s[48:49]                  // 00000000D7F8: D1000034 00C2612E
	v_cmp_u_f32_e64 s[48:49], v225, v225                       // 00000000D800: D0480030 0003C3E1
	v_add3_u32 v46, v225, v49, 1                               // 00000000D808: D1FF002E 020663E1
	v_cndmask_b32_e64 v53, v46, v48, s[48:49]                  // 00000000D810: D1000035 00C2612E
	v_perm_b32 v224, v53, v52, s52                             // 00000000D818: D1ED00E0 00D26935
	v_cmp_u_f32_e64 s[48:49], v226, v226                       // 00000000D820: D0480030 0003C5E2
	v_add3_u32 v46, v226, v49, 1                               // 00000000D828: D1FF002E 020663E2
	v_cndmask_b32_e64 v52, v46, v48, s[48:49]                  // 00000000D830: D1000034 00C2612E
	v_cmp_u_f32_e64 s[48:49], v227, v227                       // 00000000D838: D0480030 0003C7E3
	v_add3_u32 v46, v227, v49, 1                               // 00000000D840: D1FF002E 020663E3
	v_cndmask_b32_e64 v53, v46, v48, s[48:49]                  // 00000000D848: D1000035 00C2612E
	v_perm_b32 v225, v53, v52, s52                             // 00000000D850: D1ED00E1 00D26935
	v_cmp_u_f32_e64 s[48:49], v228, v228                       // 00000000D858: D0480030 0003C9E4
	v_add3_u32 v46, v228, v49, 1                               // 00000000D860: D1FF002E 020663E4
	v_cndmask_b32_e64 v52, v46, v48, s[48:49]                  // 00000000D868: D1000034 00C2612E
	v_cmp_u_f32_e64 s[48:49], v229, v229                       // 00000000D870: D0480030 0003CBE5
	v_add3_u32 v46, v229, v49, 1                               // 00000000D878: D1FF002E 020663E5
	v_cndmask_b32_e64 v53, v46, v48, s[48:49]                  // 00000000D880: D1000035 00C2612E
	v_perm_b32 v226, v53, v52, s52                             // 00000000D888: D1ED00E2 00D26935
	v_cmp_u_f32_e64 s[48:49], v230, v230                       // 00000000D890: D0480030 0003CDE6
	v_add3_u32 v46, v230, v49, 1                               // 00000000D898: D1FF002E 020663E6
	v_cndmask_b32_e64 v52, v46, v48, s[48:49]                  // 00000000D8A0: D1000034 00C2612E
	v_cmp_u_f32_e64 s[48:49], v231, v231                       // 00000000D8A8: D0480030 0003CFE7
	v_add3_u32 v46, v231, v49, 1                               // 00000000D8B0: D1FF002E 020663E7
	v_cndmask_b32_e64 v53, v46, v48, s[48:49]                  // 00000000D8B8: D1000035 00C2612E
	v_perm_b32 v227, v53, v52, s52                             // 00000000D8C0: D1ED00E3 00D26935
	v_cmp_u_f32_e64 s[48:49], v232, v232                       // 00000000D8C8: D0480030 0003D1E8
	v_add3_u32 v46, v232, v49, 1                               // 00000000D8D0: D1FF002E 020663E8
	v_cndmask_b32_e64 v52, v46, v48, s[48:49]                  // 00000000D8D8: D1000034 00C2612E
	v_cmp_u_f32_e64 s[48:49], v233, v233                       // 00000000D8E0: D0480030 0003D3E9
	v_add3_u32 v46, v233, v49, 1                               // 00000000D8E8: D1FF002E 020663E9
	v_cndmask_b32_e64 v53, v46, v48, s[48:49]                  // 00000000D8F0: D1000035 00C2612E
	v_perm_b32 v228, v53, v52, s52                             // 00000000D8F8: D1ED00E4 00D26935
	v_cmp_u_f32_e64 s[48:49], v234, v234                       // 00000000D900: D0480030 0003D5EA
	v_add3_u32 v46, v234, v49, 1                               // 00000000D908: D1FF002E 020663EA
	v_cndmask_b32_e64 v52, v46, v48, s[48:49]                  // 00000000D910: D1000034 00C2612E
	v_cmp_u_f32_e64 s[48:49], v235, v235                       // 00000000D918: D0480030 0003D7EB
	v_add3_u32 v46, v235, v49, 1                               // 00000000D920: D1FF002E 020663EB
	v_cndmask_b32_e64 v53, v46, v48, s[48:49]                  // 00000000D928: D1000035 00C2612E
	v_perm_b32 v229, v53, v52, s52                             // 00000000D930: D1ED00E5 00D26935
	v_cmp_u_f32_e64 s[48:49], v236, v236                       // 00000000D938: D0480030 0003D9EC
	v_add3_u32 v46, v236, v49, 1                               // 00000000D940: D1FF002E 020663EC
	v_cndmask_b32_e64 v52, v46, v48, s[48:49]                  // 00000000D948: D1000034 00C2612E
	v_cmp_u_f32_e64 s[48:49], v237, v237                       // 00000000D950: D0480030 0003DBED
	v_add3_u32 v46, v237, v49, 1                               // 00000000D958: D1FF002E 020663ED
	v_cndmask_b32_e64 v53, v46, v48, s[48:49]                  // 00000000D960: D1000035 00C2612E
	v_perm_b32 v230, v53, v52, s52                             // 00000000D968: D1ED00E6 00D26935
	v_cmp_u_f32_e64 s[48:49], v238, v238                       // 00000000D970: D0480030 0003DDEE
	v_add3_u32 v46, v238, v49, 1                               // 00000000D978: D1FF002E 020663EE
	v_cndmask_b32_e64 v52, v46, v48, s[48:49]                  // 00000000D980: D1000034 00C2612E
	v_cmp_u_f32_e64 s[48:49], v239, v239                       // 00000000D988: D0480030 0003DFEF
	v_add3_u32 v46, v239, v49, 1                               // 00000000D990: D1FF002E 020663EF
	v_cndmask_b32_e64 v53, v46, v48, s[48:49]                  // 00000000D998: D1000035 00C2612E
	v_perm_b32 v231, v53, v52, s52                             // 00000000D9A0: D1ED00E7 00D26935
	v_cmp_u_f32_e64 s[48:49], v240, v240                       // 00000000D9A8: D0480030 0003E1F0
	v_add3_u32 v46, v240, v49, 1                               // 00000000D9B0: D1FF002E 020663F0
	v_cndmask_b32_e64 v52, v46, v48, s[48:49]                  // 00000000D9B8: D1000034 00C2612E
	v_cmp_u_f32_e64 s[48:49], v241, v241                       // 00000000D9C0: D0480030 0003E3F1
	v_add3_u32 v46, v241, v49, 1                               // 00000000D9C8: D1FF002E 020663F1
	v_cndmask_b32_e64 v53, v46, v48, s[48:49]                  // 00000000D9D0: D1000035 00C2612E
	v_perm_b32 v232, v53, v52, s52                             // 00000000D9D8: D1ED00E8 00D26935
	v_cmp_u_f32_e64 s[48:49], v242, v242                       // 00000000D9E0: D0480030 0003E5F2
	v_add3_u32 v46, v242, v49, 1                               // 00000000D9E8: D1FF002E 020663F2
	v_cndmask_b32_e64 v52, v46, v48, s[48:49]                  // 00000000D9F0: D1000034 00C2612E
	v_cmp_u_f32_e64 s[48:49], v243, v243                       // 00000000D9F8: D0480030 0003E7F3
	v_add3_u32 v46, v243, v49, 1                               // 00000000DA00: D1FF002E 020663F3
	v_cndmask_b32_e64 v53, v46, v48, s[48:49]                  // 00000000DA08: D1000035 00C2612E
	v_perm_b32 v233, v53, v52, s52                             // 00000000DA10: D1ED00E9 00D26935
	v_cmp_u_f32_e64 s[48:49], v244, v244                       // 00000000DA18: D0480030 0003E9F4
	v_add3_u32 v46, v244, v49, 1                               // 00000000DA20: D1FF002E 020663F4
	v_cndmask_b32_e64 v52, v46, v48, s[48:49]                  // 00000000DA28: D1000034 00C2612E
	v_cmp_u_f32_e64 s[48:49], v245, v245                       // 00000000DA30: D0480030 0003EBF5
	v_add3_u32 v46, v245, v49, 1                               // 00000000DA38: D1FF002E 020663F5
	v_cndmask_b32_e64 v53, v46, v48, s[48:49]                  // 00000000DA40: D1000035 00C2612E
	v_perm_b32 v234, v53, v52, s52                             // 00000000DA48: D1ED00EA 00D26935
	v_cmp_u_f32_e64 s[48:49], v246, v246                       // 00000000DA50: D0480030 0003EDF6
	v_add3_u32 v46, v246, v49, 1                               // 00000000DA58: D1FF002E 020663F6
	v_cndmask_b32_e64 v52, v46, v48, s[48:49]                  // 00000000DA60: D1000034 00C2612E
	v_cmp_u_f32_e64 s[48:49], v247, v247                       // 00000000DA68: D0480030 0003EFF7
	v_add3_u32 v46, v247, v49, 1                               // 00000000DA70: D1FF002E 020663F7
	v_cndmask_b32_e64 v53, v46, v48, s[48:49]                  // 00000000DA78: D1000035 00C2612E
	v_perm_b32 v235, v53, v52, s52                             // 00000000DA80: D1ED00EB 00D26935
	v_cmp_u_f32_e64 s[48:49], v248, v248                       // 00000000DA88: D0480030 0003F1F8
	v_add3_u32 v46, v248, v49, 1                               // 00000000DA90: D1FF002E 020663F8
	v_cndmask_b32_e64 v52, v46, v48, s[48:49]                  // 00000000DA98: D1000034 00C2612E
	v_cmp_u_f32_e64 s[48:49], v249, v249                       // 00000000DAA0: D0480030 0003F3F9
	v_add3_u32 v46, v249, v49, 1                               // 00000000DAA8: D1FF002E 020663F9
	v_cndmask_b32_e64 v53, v46, v48, s[48:49]                  // 00000000DAB0: D1000035 00C2612E
	v_perm_b32 v236, v53, v52, s52                             // 00000000DAB8: D1ED00EC 00D26935
	v_cmp_u_f32_e64 s[48:49], v250, v250                       // 00000000DAC0: D0480030 0003F5FA
	v_add3_u32 v46, v250, v49, 1                               // 00000000DAC8: D1FF002E 020663FA
	v_cndmask_b32_e64 v52, v46, v48, s[48:49]                  // 00000000DAD0: D1000034 00C2612E
	v_cmp_u_f32_e64 s[48:49], v251, v251                       // 00000000DAD8: D0480030 0003F7FB
	v_add3_u32 v46, v251, v49, 1                               // 00000000DAE0: D1FF002E 020663FB
	v_cndmask_b32_e64 v53, v46, v48, s[48:49]                  // 00000000DAE8: D1000035 00C2612E
	v_perm_b32 v237, v53, v52, s52                             // 00000000DAF0: D1ED00ED 00D26935
	v_cmp_u_f32_e64 s[48:49], v252, v252                       // 00000000DAF8: D0480030 0003F9FC
	v_add3_u32 v46, v252, v49, 1                               // 00000000DB00: D1FF002E 020663FC
	v_cndmask_b32_e64 v52, v46, v48, s[48:49]                  // 00000000DB08: D1000034 00C2612E
	v_cmp_u_f32_e64 s[48:49], v253, v253                       // 00000000DB10: D0480030 0003FBFD
	v_add3_u32 v46, v253, v49, 1                               // 00000000DB18: D1FF002E 020663FD
	v_cndmask_b32_e64 v53, v46, v48, s[48:49]                  // 00000000DB20: D1000035 00C2612E
	v_perm_b32 v238, v53, v52, s52                             // 00000000DB28: D1ED00EE 00D26935
	v_cmp_u_f32_e64 s[48:49], v254, v254                       // 00000000DB30: D0480030 0003FDFE
	v_add3_u32 v46, v254, v49, 1                               // 00000000DB38: D1FF002E 020663FE
	v_cndmask_b32_e64 v52, v46, v48, s[48:49]                  // 00000000DB40: D1000034 00C2612E
	v_cmp_u_f32_e64 s[48:49], v255, v255                       // 00000000DB48: D0480030 0003FFFF
	v_add3_u32 v46, v255, v49, 1                               // 00000000DB50: D1FF002E 020663FF
	v_cndmask_b32_e64 v53, v46, v48, s[48:49]                  // 00000000DB58: D1000035 00C2612E
	v_perm_b32 v239, v53, v52, s52                             // 00000000DB60: D1ED00EF 00D26935
	ds_write_b64 v3, v[224:225] offset:35072                   // 00000000DB68: D89A8900 0000E003
	ds_write_b64 v3, v[226:227] offset:43776                   // 00000000DB70: D89AAB00 0000E203
	ds_write_b64 v3, v[228:229] offset:37248                   // 00000000DB78: D89A9180 0000E403
	ds_write_b64 v3, v[230:231] offset:45952                   // 00000000DB80: D89AB380 0000E603
	ds_write_b64 v3, v[232:233] offset:39424                   // 00000000DB88: D89A9A00 0000E803
	ds_write_b64 v3, v[234:235] offset:48128                   // 00000000DB90: D89ABC00 0000EA03
	ds_write_b64 v3, v[236:237] offset:41600                   // 00000000DB98: D89AA280 0000EC03
	ds_write_b64 v3, v[238:239] offset:50304                   // 00000000DBA0: D89AC480 0000EE03
	s_waitcnt lgkmcnt(0)                                       // 00000000DBA8: BF8CC07F
	s_barrier                                                  // 00000000DBAC: BF8A0000
	ds_read_b32 v64, v4 offset:35072                           // 00000000DBB0: D86C8900 40000004
	ds_read_b32 v65, v4 offset:39424                           // 00000000DBB8: D86C9A00 41000004
	ds_read_b32 v66, v4 offset:35104                           // 00000000DBC0: D86C8920 42000004
	ds_read_b32 v67, v4 offset:39456                           // 00000000DBC8: D86C9A20 43000004
	ds_read_b32 v68, v4 offset:35136                           // 00000000DBD0: D86C8940 44000004
	ds_read_b32 v69, v4 offset:39488                           // 00000000DBD8: D86C9A40 45000004
	ds_read_b32 v70, v4 offset:35168                           // 00000000DBE0: D86C8960 46000004
	ds_read_b32 v71, v4 offset:39520                           // 00000000DBE8: D86C9A60 47000004
	ds_read_b32 v72, v4 offset:43776                           // 00000000DBF0: D86CAB00 48000004
	ds_read_b32 v73, v4 offset:48128                           // 00000000DBF8: D86CBC00 49000004
	ds_read_b32 v74, v4 offset:43808                           // 00000000DC00: D86CAB20 4A000004
	ds_read_b32 v75, v4 offset:48160                           // 00000000DC08: D86CBC20 4B000004
	ds_read_b32 v76, v4 offset:43840                           // 00000000DC10: D86CAB40 4C000004
	ds_read_b32 v77, v4 offset:48192                           // 00000000DC18: D86CBC40 4D000004
	ds_read_b32 v78, v4 offset:43872                           // 00000000DC20: D86CAB60 4E000004
	ds_read_b32 v79, v4 offset:48224                           // 00000000DC28: D86CBC60 4F000004
	s_waitcnt lgkmcnt(0)                                       // 00000000DC30: BF8CC07F
	s_mov_b64 exec, s[20:21]                                   // 00000000DC34: BEFE0114
	global_atomic_pk_add_bf16 v80, v64, s[8:9]                 // 00000000DC38: DD488000 00084050
	s_mov_b64 exec, s[36:37]                                   // 00000000DC40: BEFE0124
	s_mov_b64 exec, s[20:21]                                   // 00000000DC44: BEFE0114
	global_atomic_pk_add_bf16 v80, v65, s[8:9] offset:256      // 00000000DC48: DD488100 00084150
	s_mov_b64 exec, s[36:37]                                   // 00000000DC50: BEFE0124
	s_mov_b64 exec, s[22:23]                                   // 00000000DC54: BEFE0116
	global_atomic_pk_add_bf16 v82, v66, s[8:9]                 // 00000000DC58: DD488000 00084252
	s_mov_b64 exec, s[36:37]                                   // 00000000DC60: BEFE0124
	s_mov_b64 exec, s[22:23]                                   // 00000000DC64: BEFE0116
	global_atomic_pk_add_bf16 v82, v67, s[8:9] offset:256      // 00000000DC68: DD488100 00084352
	s_mov_b64 exec, s[36:37]                                   // 00000000DC70: BEFE0124
	s_mov_b64 exec, s[24:25]                                   // 00000000DC74: BEFE0118
	global_atomic_pk_add_bf16 v84, v68, s[8:9]                 // 00000000DC78: DD488000 00084454
	s_mov_b64 exec, s[36:37]                                   // 00000000DC80: BEFE0124
	s_mov_b64 exec, s[24:25]                                   // 00000000DC84: BEFE0118
	global_atomic_pk_add_bf16 v84, v69, s[8:9] offset:256      // 00000000DC88: DD488100 00084554
	s_mov_b64 exec, s[36:37]                                   // 00000000DC90: BEFE0124
	s_mov_b64 exec, s[26:27]                                   // 00000000DC94: BEFE011A
	global_atomic_pk_add_bf16 v86, v70, s[8:9]                 // 00000000DC98: DD488000 00084656
	s_mov_b64 exec, s[36:37]                                   // 00000000DCA0: BEFE0124
	s_mov_b64 exec, s[26:27]                                   // 00000000DCA4: BEFE011A
	global_atomic_pk_add_bf16 v86, v71, s[8:9] offset:256      // 00000000DCA8: DD488100 00084756
	s_mov_b64 exec, s[36:37]                                   // 00000000DCB0: BEFE0124
	s_mov_b64 exec, s[28:29]                                   // 00000000DCB4: BEFE011C
	global_atomic_pk_add_bf16 v88, v72, s[8:9]                 // 00000000DCB8: DD488000 00084858
	s_mov_b64 exec, s[36:37]                                   // 00000000DCC0: BEFE0124
	s_mov_b64 exec, s[28:29]                                   // 00000000DCC4: BEFE011C
	global_atomic_pk_add_bf16 v88, v73, s[8:9] offset:256      // 00000000DCC8: DD488100 00084958
	s_mov_b64 exec, s[36:37]                                   // 00000000DCD0: BEFE0124
	s_mov_b64 exec, s[30:31]                                   // 00000000DCD4: BEFE011E
	global_atomic_pk_add_bf16 v90, v74, s[8:9]                 // 00000000DCD8: DD488000 00084A5A
	s_mov_b64 exec, s[36:37]                                   // 00000000DCE0: BEFE0124
	s_mov_b64 exec, s[30:31]                                   // 00000000DCE4: BEFE011E
	global_atomic_pk_add_bf16 v90, v75, s[8:9] offset:256      // 00000000DCE8: DD488100 00084B5A
	s_mov_b64 exec, s[36:37]                                   // 00000000DCF0: BEFE0124
	s_mov_b64 exec, s[32:33]                                   // 00000000DCF4: BEFE0120
	global_atomic_pk_add_bf16 v92, v76, s[8:9]                 // 00000000DCF8: DD488000 00084C5C
	s_mov_b64 exec, s[36:37]                                   // 00000000DD00: BEFE0124
	s_mov_b64 exec, s[32:33]                                   // 00000000DD04: BEFE0120
	global_atomic_pk_add_bf16 v92, v77, s[8:9] offset:256      // 00000000DD08: DD488100 00084D5C
	s_mov_b64 exec, s[36:37]                                   // 00000000DD10: BEFE0124
	s_mov_b64 exec, s[34:35]                                   // 00000000DD14: BEFE0122
	global_atomic_pk_add_bf16 v94, v78, s[8:9]                 // 00000000DD18: DD488000 00084E5E
	s_mov_b64 exec, s[36:37]                                   // 00000000DD20: BEFE0124
	s_mov_b64 exec, s[34:35]                                   // 00000000DD24: BEFE0122
	global_atomic_pk_add_bf16 v94, v79, s[8:9] offset:256      // 00000000DD28: DD488100 00084F5E
	s_mov_b64 exec, s[36:37]                                   // 00000000DD30: BEFE0124
	s_add_u32 s8, s59, s8                                      // 00000000DD34: 8008083B
	s_addc_u32 s9, 0, s9                                       // 00000000DD38: 82090980
	s_addk_i32 s80, 0x100                                      // 00000000DD3C: B7500100
	s_cmp_lt_i32 s80, s81                                      // 00000000DD40: BF045150
	s_cbranch_scc0 label_177A                                  // 00000000DD44: BF84EBA8
	s_branch label_251C                                        // 00000000DD48: BF82F949

000000000000dd4c <label_2BD3>:
	s_waitcnt vmcnt(0) expcnt(0) lgkmcnt(0)                    // 00000000DD4C: BF8C0000
	s_add_u32 s100, s100, 1                                    // 00000000DD50: 80648164
	s_cmp_eq_u32 s96, 0                                        // 00000000DD54: BF068060
	s_cbranch_scc0 label_0039                                  // 00000000DD58: BF84D462

000000000000dd5c <label_2BD7>:
	s_waitcnt vmcnt(0) expcnt(0) lgkmcnt(0)                    // 00000000DD5C: BF8C0000
	s_endpgm                                                   // 00000000DD60: BF810000
